;; amdgpu-corpus repo=ROCm/rocFFT kind=compiled arch=gfx1201 opt=O3
	.text
	.amdgcn_target "amdgcn-amd-amdhsa--gfx1201"
	.amdhsa_code_object_version 6
	.protected	fft_rtc_back_len1620_factors_10_3_3_6_3_wgs_162_tpt_162_halfLds_dp_op_CI_CI_unitstride_sbrr_C2R_dirReg ; -- Begin function fft_rtc_back_len1620_factors_10_3_3_6_3_wgs_162_tpt_162_halfLds_dp_op_CI_CI_unitstride_sbrr_C2R_dirReg
	.globl	fft_rtc_back_len1620_factors_10_3_3_6_3_wgs_162_tpt_162_halfLds_dp_op_CI_CI_unitstride_sbrr_C2R_dirReg
	.p2align	8
	.type	fft_rtc_back_len1620_factors_10_3_3_6_3_wgs_162_tpt_162_halfLds_dp_op_CI_CI_unitstride_sbrr_C2R_dirReg,@function
fft_rtc_back_len1620_factors_10_3_3_6_3_wgs_162_tpt_162_halfLds_dp_op_CI_CI_unitstride_sbrr_C2R_dirReg: ; @fft_rtc_back_len1620_factors_10_3_3_6_3_wgs_162_tpt_162_halfLds_dp_op_CI_CI_unitstride_sbrr_C2R_dirReg
; %bb.0:
	s_clause 0x2
	s_load_b128 s[8:11], s[0:1], 0x0
	s_load_b128 s[4:7], s[0:1], 0x58
	;; [unrolled: 1-line block ×3, first 2 shown]
	v_mul_u32_u24_e32 v1, 0x195, v0
	v_mov_b32_e32 v3, 0
	s_delay_alu instid0(VALU_DEP_2) | instskip(NEXT) | instid1(VALU_DEP_1)
	v_lshrrev_b32_e32 v1, 16, v1
	v_add_nc_u32_e32 v5, ttmp9, v1
	v_mov_b32_e32 v1, 0
	v_mov_b32_e32 v2, 0
	;; [unrolled: 1-line block ×3, first 2 shown]
	s_wait_kmcnt 0x0
	v_cmp_lt_u64_e64 s2, s[10:11], 2
	s_delay_alu instid0(VALU_DEP_1)
	s_and_b32 vcc_lo, exec_lo, s2
	s_cbranch_vccnz .LBB0_8
; %bb.1:
	s_load_b64 s[2:3], s[0:1], 0x10
	v_mov_b32_e32 v1, 0
	v_mov_b32_e32 v2, 0
	s_add_nc_u64 s[16:17], s[14:15], 8
	s_add_nc_u64 s[18:19], s[12:13], 8
	s_mov_b64 s[20:21], 1
	s_delay_alu instid0(VALU_DEP_1)
	v_dual_mov_b32 v49, v2 :: v_dual_mov_b32 v48, v1
	s_wait_kmcnt 0x0
	s_add_nc_u64 s[22:23], s[2:3], 8
	s_mov_b32 s3, 0
.LBB0_2:                                ; =>This Inner Loop Header: Depth=1
	s_load_b64 s[24:25], s[22:23], 0x0
                                        ; implicit-def: $vgpr52_vgpr53
	s_mov_b32 s2, exec_lo
	s_wait_kmcnt 0x0
	v_or_b32_e32 v4, s25, v6
	s_delay_alu instid0(VALU_DEP_1)
	v_cmpx_ne_u64_e32 0, v[3:4]
	s_wait_alu 0xfffe
	s_xor_b32 s26, exec_lo, s2
	s_cbranch_execz .LBB0_4
; %bb.3:                                ;   in Loop: Header=BB0_2 Depth=1
	s_cvt_f32_u32 s2, s24
	s_cvt_f32_u32 s27, s25
	s_sub_nc_u64 s[30:31], 0, s[24:25]
	s_wait_alu 0xfffe
	s_delay_alu instid0(SALU_CYCLE_1) | instskip(SKIP_1) | instid1(SALU_CYCLE_2)
	s_fmamk_f32 s2, s27, 0x4f800000, s2
	s_wait_alu 0xfffe
	v_s_rcp_f32 s2, s2
	s_delay_alu instid0(TRANS32_DEP_1) | instskip(SKIP_1) | instid1(SALU_CYCLE_2)
	s_mul_f32 s2, s2, 0x5f7ffffc
	s_wait_alu 0xfffe
	s_mul_f32 s27, s2, 0x2f800000
	s_wait_alu 0xfffe
	s_delay_alu instid0(SALU_CYCLE_2) | instskip(SKIP_1) | instid1(SALU_CYCLE_2)
	s_trunc_f32 s27, s27
	s_wait_alu 0xfffe
	s_fmamk_f32 s2, s27, 0xcf800000, s2
	s_cvt_u32_f32 s29, s27
	s_wait_alu 0xfffe
	s_delay_alu instid0(SALU_CYCLE_1) | instskip(SKIP_1) | instid1(SALU_CYCLE_2)
	s_cvt_u32_f32 s28, s2
	s_wait_alu 0xfffe
	s_mul_u64 s[34:35], s[30:31], s[28:29]
	s_wait_alu 0xfffe
	s_mul_hi_u32 s37, s28, s35
	s_mul_i32 s36, s28, s35
	s_mul_hi_u32 s2, s28, s34
	s_mul_i32 s33, s29, s34
	s_wait_alu 0xfffe
	s_add_nc_u64 s[36:37], s[2:3], s[36:37]
	s_mul_hi_u32 s27, s29, s34
	s_mul_hi_u32 s38, s29, s35
	s_add_co_u32 s2, s36, s33
	s_wait_alu 0xfffe
	s_add_co_ci_u32 s2, s37, s27
	s_mul_i32 s34, s29, s35
	s_add_co_ci_u32 s35, s38, 0
	s_wait_alu 0xfffe
	s_add_nc_u64 s[34:35], s[2:3], s[34:35]
	s_wait_alu 0xfffe
	v_add_co_u32 v4, s2, s28, s34
	s_delay_alu instid0(VALU_DEP_1) | instskip(SKIP_1) | instid1(VALU_DEP_1)
	s_cmp_lg_u32 s2, 0
	s_add_co_ci_u32 s29, s29, s35
	v_readfirstlane_b32 s28, v4
	s_wait_alu 0xfffe
	s_delay_alu instid0(VALU_DEP_1)
	s_mul_u64 s[30:31], s[30:31], s[28:29]
	s_wait_alu 0xfffe
	s_mul_hi_u32 s35, s28, s31
	s_mul_i32 s34, s28, s31
	s_mul_hi_u32 s2, s28, s30
	s_mul_i32 s33, s29, s30
	s_wait_alu 0xfffe
	s_add_nc_u64 s[34:35], s[2:3], s[34:35]
	s_mul_hi_u32 s27, s29, s30
	s_mul_hi_u32 s28, s29, s31
	s_wait_alu 0xfffe
	s_add_co_u32 s2, s34, s33
	s_add_co_ci_u32 s2, s35, s27
	s_mul_i32 s30, s29, s31
	s_add_co_ci_u32 s31, s28, 0
	s_wait_alu 0xfffe
	s_add_nc_u64 s[30:31], s[2:3], s[30:31]
	s_wait_alu 0xfffe
	v_add_co_u32 v4, s2, v4, s30
	s_delay_alu instid0(VALU_DEP_1) | instskip(SKIP_1) | instid1(VALU_DEP_1)
	s_cmp_lg_u32 s2, 0
	s_add_co_ci_u32 s2, s29, s31
	v_mul_hi_u32 v13, v5, v4
	s_wait_alu 0xfffe
	v_mad_co_u64_u32 v[7:8], null, v5, s2, 0
	v_mad_co_u64_u32 v[9:10], null, v6, v4, 0
	;; [unrolled: 1-line block ×3, first 2 shown]
	s_delay_alu instid0(VALU_DEP_3) | instskip(SKIP_1) | instid1(VALU_DEP_4)
	v_add_co_u32 v4, vcc_lo, v13, v7
	s_wait_alu 0xfffd
	v_add_co_ci_u32_e32 v7, vcc_lo, 0, v8, vcc_lo
	s_delay_alu instid0(VALU_DEP_2) | instskip(SKIP_1) | instid1(VALU_DEP_2)
	v_add_co_u32 v4, vcc_lo, v4, v9
	s_wait_alu 0xfffd
	v_add_co_ci_u32_e32 v4, vcc_lo, v7, v10, vcc_lo
	s_wait_alu 0xfffd
	v_add_co_ci_u32_e32 v7, vcc_lo, 0, v12, vcc_lo
	s_delay_alu instid0(VALU_DEP_2) | instskip(SKIP_1) | instid1(VALU_DEP_2)
	v_add_co_u32 v4, vcc_lo, v4, v11
	s_wait_alu 0xfffd
	v_add_co_ci_u32_e32 v9, vcc_lo, 0, v7, vcc_lo
	s_delay_alu instid0(VALU_DEP_2) | instskip(SKIP_1) | instid1(VALU_DEP_3)
	v_mul_lo_u32 v10, s25, v4
	v_mad_co_u64_u32 v[7:8], null, s24, v4, 0
	v_mul_lo_u32 v11, s24, v9
	s_delay_alu instid0(VALU_DEP_2) | instskip(NEXT) | instid1(VALU_DEP_2)
	v_sub_co_u32 v7, vcc_lo, v5, v7
	v_add3_u32 v8, v8, v11, v10
	s_delay_alu instid0(VALU_DEP_1) | instskip(SKIP_1) | instid1(VALU_DEP_1)
	v_sub_nc_u32_e32 v10, v6, v8
	s_wait_alu 0xfffd
	v_subrev_co_ci_u32_e64 v10, s2, s25, v10, vcc_lo
	v_add_co_u32 v11, s2, v4, 2
	s_wait_alu 0xf1ff
	v_add_co_ci_u32_e64 v12, s2, 0, v9, s2
	v_sub_co_u32 v13, s2, v7, s24
	v_sub_co_ci_u32_e32 v8, vcc_lo, v6, v8, vcc_lo
	s_wait_alu 0xf1ff
	v_subrev_co_ci_u32_e64 v10, s2, 0, v10, s2
	s_delay_alu instid0(VALU_DEP_3) | instskip(NEXT) | instid1(VALU_DEP_3)
	v_cmp_le_u32_e32 vcc_lo, s24, v13
	v_cmp_eq_u32_e64 s2, s25, v8
	s_wait_alu 0xfffd
	v_cndmask_b32_e64 v13, 0, -1, vcc_lo
	v_cmp_le_u32_e32 vcc_lo, s25, v10
	s_wait_alu 0xfffd
	v_cndmask_b32_e64 v14, 0, -1, vcc_lo
	v_cmp_le_u32_e32 vcc_lo, s24, v7
	;; [unrolled: 3-line block ×3, first 2 shown]
	s_wait_alu 0xfffd
	v_cndmask_b32_e64 v15, 0, -1, vcc_lo
	v_cmp_eq_u32_e32 vcc_lo, s25, v10
	s_wait_alu 0xf1ff
	s_delay_alu instid0(VALU_DEP_2)
	v_cndmask_b32_e64 v7, v15, v7, s2
	s_wait_alu 0xfffd
	v_cndmask_b32_e32 v10, v14, v13, vcc_lo
	v_add_co_u32 v13, vcc_lo, v4, 1
	s_wait_alu 0xfffd
	v_add_co_ci_u32_e32 v14, vcc_lo, 0, v9, vcc_lo
	s_delay_alu instid0(VALU_DEP_3) | instskip(SKIP_1) | instid1(VALU_DEP_2)
	v_cmp_ne_u32_e32 vcc_lo, 0, v10
	s_wait_alu 0xfffd
	v_cndmask_b32_e32 v8, v14, v12, vcc_lo
	v_cndmask_b32_e32 v10, v13, v11, vcc_lo
	v_cmp_ne_u32_e32 vcc_lo, 0, v7
	s_wait_alu 0xfffd
	s_delay_alu instid0(VALU_DEP_2)
	v_dual_cndmask_b32 v53, v9, v8 :: v_dual_cndmask_b32 v52, v4, v10
.LBB0_4:                                ;   in Loop: Header=BB0_2 Depth=1
	s_wait_alu 0xfffe
	s_and_not1_saveexec_b32 s2, s26
	s_cbranch_execz .LBB0_6
; %bb.5:                                ;   in Loop: Header=BB0_2 Depth=1
	v_cvt_f32_u32_e32 v4, s24
	s_sub_co_i32 s26, 0, s24
	v_mov_b32_e32 v53, v3
	s_delay_alu instid0(VALU_DEP_2) | instskip(NEXT) | instid1(TRANS32_DEP_1)
	v_rcp_iflag_f32_e32 v4, v4
	v_mul_f32_e32 v4, 0x4f7ffffe, v4
	s_delay_alu instid0(VALU_DEP_1) | instskip(SKIP_1) | instid1(VALU_DEP_1)
	v_cvt_u32_f32_e32 v4, v4
	s_wait_alu 0xfffe
	v_mul_lo_u32 v7, s26, v4
	s_delay_alu instid0(VALU_DEP_1) | instskip(NEXT) | instid1(VALU_DEP_1)
	v_mul_hi_u32 v7, v4, v7
	v_add_nc_u32_e32 v4, v4, v7
	s_delay_alu instid0(VALU_DEP_1) | instskip(NEXT) | instid1(VALU_DEP_1)
	v_mul_hi_u32 v4, v5, v4
	v_mul_lo_u32 v7, v4, s24
	v_add_nc_u32_e32 v8, 1, v4
	s_delay_alu instid0(VALU_DEP_2) | instskip(NEXT) | instid1(VALU_DEP_1)
	v_sub_nc_u32_e32 v7, v5, v7
	v_subrev_nc_u32_e32 v9, s24, v7
	v_cmp_le_u32_e32 vcc_lo, s24, v7
	s_wait_alu 0xfffd
	s_delay_alu instid0(VALU_DEP_2) | instskip(NEXT) | instid1(VALU_DEP_1)
	v_dual_cndmask_b32 v7, v7, v9 :: v_dual_cndmask_b32 v4, v4, v8
	v_cmp_le_u32_e32 vcc_lo, s24, v7
	s_delay_alu instid0(VALU_DEP_2) | instskip(SKIP_1) | instid1(VALU_DEP_1)
	v_add_nc_u32_e32 v8, 1, v4
	s_wait_alu 0xfffd
	v_cndmask_b32_e32 v52, v4, v8, vcc_lo
.LBB0_6:                                ;   in Loop: Header=BB0_2 Depth=1
	s_wait_alu 0xfffe
	s_or_b32 exec_lo, exec_lo, s2
	v_mul_lo_u32 v4, v53, s24
	s_delay_alu instid0(VALU_DEP_2)
	v_mul_lo_u32 v9, v52, s25
	s_load_b64 s[26:27], s[18:19], 0x0
	v_mad_co_u64_u32 v[7:8], null, v52, s24, 0
	s_load_b64 s[24:25], s[16:17], 0x0
	s_add_nc_u64 s[20:21], s[20:21], 1
	s_add_nc_u64 s[16:17], s[16:17], 8
	s_wait_alu 0xfffe
	v_cmp_ge_u64_e64 s2, s[20:21], s[10:11]
	s_add_nc_u64 s[18:19], s[18:19], 8
	s_add_nc_u64 s[22:23], s[22:23], 8
	v_add3_u32 v4, v8, v9, v4
	v_sub_co_u32 v5, vcc_lo, v5, v7
	s_wait_alu 0xfffd
	s_delay_alu instid0(VALU_DEP_2) | instskip(SKIP_2) | instid1(VALU_DEP_1)
	v_sub_co_ci_u32_e32 v4, vcc_lo, v6, v4, vcc_lo
	s_and_b32 vcc_lo, exec_lo, s2
	s_wait_kmcnt 0x0
	v_mul_lo_u32 v6, s26, v4
	v_mul_lo_u32 v7, s27, v5
	v_mad_co_u64_u32 v[1:2], null, s26, v5, v[1:2]
	v_mul_lo_u32 v4, s24, v4
	v_mul_lo_u32 v8, s25, v5
	v_mad_co_u64_u32 v[48:49], null, s24, v5, v[48:49]
	s_delay_alu instid0(VALU_DEP_4) | instskip(NEXT) | instid1(VALU_DEP_2)
	v_add3_u32 v2, v7, v2, v6
	v_add3_u32 v49, v8, v49, v4
	s_wait_alu 0xfffe
	s_cbranch_vccnz .LBB0_9
; %bb.7:                                ;   in Loop: Header=BB0_2 Depth=1
	v_dual_mov_b32 v5, v52 :: v_dual_mov_b32 v6, v53
	s_branch .LBB0_2
.LBB0_8:
	v_dual_mov_b32 v49, v2 :: v_dual_mov_b32 v48, v1
	v_dual_mov_b32 v53, v6 :: v_dual_mov_b32 v52, v5
.LBB0_9:
	s_load_b64 s[0:1], s[0:1], 0x28
	v_mul_hi_u32 v3, 0x1948b10, v0
	s_lshl_b64 s[2:3], s[10:11], 3
                                        ; implicit-def: $vgpr50
	s_wait_alu 0xfffe
	s_add_nc_u64 s[10:11], s[14:15], s[2:3]
	s_wait_kmcnt 0x0
	v_cmp_gt_u64_e32 vcc_lo, s[0:1], v[52:53]
	v_cmp_le_u64_e64 s0, s[0:1], v[52:53]
	s_delay_alu instid0(VALU_DEP_1)
	s_and_saveexec_b32 s1, s0
	s_wait_alu 0xfffe
	s_xor_b32 s0, exec_lo, s1
; %bb.10:
	v_mul_u32_u24_e32 v1, 0xa2, v3
                                        ; implicit-def: $vgpr3
	s_delay_alu instid0(VALU_DEP_1)
	v_sub_nc_u32_e32 v50, v0, v1
                                        ; implicit-def: $vgpr0
                                        ; implicit-def: $vgpr1_vgpr2
; %bb.11:
	s_wait_alu 0xfffe
	s_or_saveexec_b32 s1, s0
	s_load_b64 s[10:11], s[10:11], 0x0
	s_xor_b32 exec_lo, exec_lo, s1
	s_cbranch_execz .LBB0_15
; %bb.12:
	s_add_nc_u64 s[2:3], s[12:13], s[2:3]
	v_lshlrev_b64_e32 v[1:2], 4, v[1:2]
	s_load_b64 s[2:3], s[2:3], 0x0
	s_wait_kmcnt 0x0
	v_mul_lo_u32 v6, s3, v52
	v_mul_lo_u32 v7, s2, v53
	v_mad_co_u64_u32 v[4:5], null, s2, v52, 0
	s_mov_b32 s2, exec_lo
	s_delay_alu instid0(VALU_DEP_1) | instskip(SKIP_1) | instid1(VALU_DEP_2)
	v_add3_u32 v5, v5, v7, v6
	v_mul_u32_u24_e32 v6, 0xa2, v3
	v_lshlrev_b64_e32 v[3:4], 4, v[4:5]
	s_delay_alu instid0(VALU_DEP_2) | instskip(NEXT) | instid1(VALU_DEP_1)
	v_sub_nc_u32_e32 v50, v0, v6
	v_lshlrev_b32_e32 v42, 4, v50
	s_delay_alu instid0(VALU_DEP_3) | instskip(SKIP_1) | instid1(VALU_DEP_4)
	v_add_co_u32 v0, s0, s4, v3
	s_wait_alu 0xf1ff
	v_add_co_ci_u32_e64 v3, s0, s5, v4, s0
	s_delay_alu instid0(VALU_DEP_2) | instskip(SKIP_1) | instid1(VALU_DEP_2)
	v_add_co_u32 v0, s0, v0, v1
	s_wait_alu 0xf1ff
	v_add_co_ci_u32_e64 v1, s0, v3, v2, s0
	s_delay_alu instid0(VALU_DEP_2) | instskip(SKIP_1) | instid1(VALU_DEP_2)
	v_add_co_u32 v38, s0, v0, v42
	s_wait_alu 0xf1ff
	v_add_co_ci_u32_e64 v39, s0, 0, v1, s0
	s_clause 0x9
	global_load_b128 v[2:5], v[38:39], off
	global_load_b128 v[6:9], v[38:39], off offset:2592
	global_load_b128 v[10:13], v[38:39], off offset:5184
	global_load_b128 v[14:17], v[38:39], off offset:7776
	global_load_b128 v[18:21], v[38:39], off offset:10368
	global_load_b128 v[22:25], v[38:39], off offset:12960
	global_load_b128 v[26:29], v[38:39], off offset:15552
	global_load_b128 v[30:33], v[38:39], off offset:18144
	global_load_b128 v[34:37], v[38:39], off offset:20736
	global_load_b128 v[38:41], v[38:39], off offset:23328
	v_add_nc_u32_e32 v42, 0, v42
	s_wait_loadcnt 0x9
	ds_store_b128 v42, v[2:5]
	s_wait_loadcnt 0x8
	ds_store_b128 v42, v[6:9] offset:2592
	s_wait_loadcnt 0x7
	ds_store_b128 v42, v[10:13] offset:5184
	;; [unrolled: 2-line block ×9, first 2 shown]
	v_cmpx_eq_u32_e32 0xa1, v50
	s_cbranch_execz .LBB0_14
; %bb.13:
	global_load_b128 v[0:3], v[0:1], off offset:25920
	v_mov_b32_e32 v4, 0
	v_mov_b32_e32 v50, 0xa1
	s_wait_loadcnt 0x0
	ds_store_b128 v4, v[0:3] offset:25920
.LBB0_14:
	s_wait_alu 0xfffe
	s_or_b32 exec_lo, exec_lo, s2
.LBB0_15:
	s_delay_alu instid0(SALU_CYCLE_1)
	s_or_b32 exec_lo, exec_lo, s1
	v_lshlrev_b32_e32 v0, 4, v50
	global_wb scope:SCOPE_SE
	s_wait_dscnt 0x0
	s_wait_kmcnt 0x0
	s_barrier_signal -1
	s_barrier_wait -1
	global_inv scope:SCOPE_SE
	v_add_nc_u32_e32 v56, 0, v0
	v_sub_nc_u32_e32 v10, 0, v0
	s_mov_b32 s1, exec_lo
                                        ; implicit-def: $vgpr4_vgpr5
	ds_load_b64 v[6:7], v56
	ds_load_b64 v[8:9], v10 offset:25920
	s_wait_dscnt 0x0
	v_add_f64_e32 v[0:1], v[6:7], v[8:9]
	v_add_f64_e64 v[2:3], v[6:7], -v[8:9]
	v_cmpx_ne_u32_e32 0, v50
	s_wait_alu 0xfffe
	s_xor_b32 s1, exec_lo, s1
	s_cbranch_execz .LBB0_17
; %bb.16:
	v_mov_b32_e32 v51, 0
	v_add_f64_e32 v[13:14], v[6:7], v[8:9]
	v_add_f64_e64 v[15:16], v[6:7], -v[8:9]
	s_delay_alu instid0(VALU_DEP_3) | instskip(NEXT) | instid1(VALU_DEP_1)
	v_lshlrev_b64_e32 v[0:1], 4, v[50:51]
	v_add_co_u32 v0, s0, s8, v0
	s_wait_alu 0xf1ff
	s_delay_alu instid0(VALU_DEP_2)
	v_add_co_ci_u32_e64 v1, s0, s9, v1, s0
	global_load_b128 v[2:5], v[0:1], off offset:25760
	ds_load_b64 v[0:1], v10 offset:25928
	ds_load_b64 v[11:12], v56 offset:8
	s_wait_dscnt 0x0
	v_add_f64_e32 v[6:7], v[0:1], v[11:12]
	v_add_f64_e64 v[0:1], v[11:12], -v[0:1]
	s_wait_loadcnt 0x0
	v_fma_f64 v[8:9], v[15:16], v[4:5], v[13:14]
	v_fma_f64 v[11:12], -v[15:16], v[4:5], v[13:14]
	s_delay_alu instid0(VALU_DEP_3) | instskip(SKIP_1) | instid1(VALU_DEP_4)
	v_fma_f64 v[13:14], v[6:7], v[4:5], -v[0:1]
	v_fma_f64 v[4:5], v[6:7], v[4:5], v[0:1]
	v_fma_f64 v[0:1], -v[6:7], v[2:3], v[8:9]
	s_delay_alu instid0(VALU_DEP_4) | instskip(NEXT) | instid1(VALU_DEP_4)
	v_fma_f64 v[6:7], v[6:7], v[2:3], v[11:12]
	v_fma_f64 v[8:9], v[15:16], v[2:3], v[13:14]
	s_delay_alu instid0(VALU_DEP_4)
	v_fma_f64 v[2:3], v[15:16], v[2:3], v[4:5]
	v_dual_mov_b32 v4, v50 :: v_dual_mov_b32 v5, v51
	ds_store_b128 v10, v[6:9] offset:25920
.LBB0_17:
	s_wait_alu 0xfffe
	s_and_not1_saveexec_b32 s0, s1
	s_cbranch_execz .LBB0_19
; %bb.18:
	v_mov_b32_e32 v8, 0
	ds_load_b128 v[4:7], v8 offset:12960
	s_wait_dscnt 0x0
	v_add_f64_e32 v[11:12], v[4:5], v[4:5]
	v_mul_f64_e32 v[13:14], -2.0, v[6:7]
	v_mov_b32_e32 v4, 0
	v_mov_b32_e32 v5, 0
	ds_store_b128 v8, v[11:14] offset:12960
.LBB0_19:
	s_wait_alu 0xfffe
	s_or_b32 exec_lo, exec_lo, s0
	v_lshlrev_b64_e32 v[4:5], 4, v[4:5]
	s_add_nc_u64 s[0:1], s[8:9], 0x64a0
	s_mov_b32 s4, 0x134454ff
	s_mov_b32 s5, 0xbfee6f0e
	;; [unrolled: 1-line block ×4, first 2 shown]
	s_wait_alu 0xfffe
	v_add_co_u32 v23, s0, s0, v4
	s_wait_alu 0xf1ff
	v_add_co_ci_u32_e64 v24, s0, s1, v5, s0
	s_mov_b32 s1, 0x3fee6f0e
	s_mov_b32 s0, s4
	;; [unrolled: 1-line block ×3, first 2 shown]
	s_clause 0x1
	global_load_b128 v[4:7], v[23:24], off offset:2592
	global_load_b128 v[11:14], v[23:24], off offset:5184
	ds_store_b128 v56, v[0:3]
	ds_load_b128 v[0:3], v56 offset:2592
	ds_load_b128 v[15:18], v10 offset:23328
	global_load_b128 v[19:22], v[23:24], off offset:7776
	s_mov_b32 s2, s12
	s_mov_b32 s14, 0x372fe950
	;; [unrolled: 1-line block ×9, first 2 shown]
	s_wait_dscnt 0x0
	v_add_f64_e32 v[8:9], v[0:1], v[15:16]
	v_add_f64_e32 v[25:26], v[17:18], v[2:3]
	v_add_f64_e64 v[15:16], v[0:1], -v[15:16]
	v_add_f64_e64 v[0:1], v[2:3], -v[17:18]
	s_wait_loadcnt 0x2
	s_delay_alu instid0(VALU_DEP_2) | instskip(NEXT) | instid1(VALU_DEP_2)
	v_fma_f64 v[2:3], v[15:16], v[6:7], v[8:9]
	v_fma_f64 v[17:18], v[25:26], v[6:7], v[0:1]
	v_fma_f64 v[8:9], -v[15:16], v[6:7], v[8:9]
	v_fma_f64 v[27:28], v[25:26], v[6:7], -v[0:1]
	s_delay_alu instid0(VALU_DEP_4) | instskip(NEXT) | instid1(VALU_DEP_4)
	v_fma_f64 v[0:1], -v[25:26], v[4:5], v[2:3]
	v_fma_f64 v[2:3], v[15:16], v[4:5], v[17:18]
	s_delay_alu instid0(VALU_DEP_4) | instskip(NEXT) | instid1(VALU_DEP_4)
	v_fma_f64 v[6:7], v[25:26], v[4:5], v[8:9]
	v_fma_f64 v[8:9], v[15:16], v[4:5], v[27:28]
	ds_store_b128 v56, v[0:3] offset:2592
	ds_store_b128 v10, v[6:9] offset:23328
	ds_load_b128 v[0:3], v56 offset:5184
	ds_load_b128 v[4:7], v10 offset:20736
	global_load_b128 v[15:18], v[23:24], off offset:10368
	s_wait_dscnt 0x0
	v_add_f64_e32 v[8:9], v[0:1], v[4:5]
	v_add_f64_e32 v[23:24], v[6:7], v[2:3]
	v_add_f64_e64 v[25:26], v[0:1], -v[4:5]
	v_add_f64_e64 v[0:1], v[2:3], -v[6:7]
	s_wait_loadcnt 0x2
	s_delay_alu instid0(VALU_DEP_2) | instskip(NEXT) | instid1(VALU_DEP_2)
	v_fma_f64 v[2:3], v[25:26], v[13:14], v[8:9]
	v_fma_f64 v[4:5], v[23:24], v[13:14], v[0:1]
	v_fma_f64 v[6:7], -v[25:26], v[13:14], v[8:9]
	v_fma_f64 v[8:9], v[23:24], v[13:14], -v[0:1]
	s_delay_alu instid0(VALU_DEP_4) | instskip(NEXT) | instid1(VALU_DEP_4)
	v_fma_f64 v[0:1], -v[23:24], v[11:12], v[2:3]
	v_fma_f64 v[2:3], v[25:26], v[11:12], v[4:5]
	s_delay_alu instid0(VALU_DEP_4) | instskip(NEXT) | instid1(VALU_DEP_4)
	v_fma_f64 v[4:5], v[23:24], v[11:12], v[6:7]
	v_fma_f64 v[6:7], v[25:26], v[11:12], v[8:9]
	ds_store_b128 v56, v[0:3] offset:5184
	ds_store_b128 v10, v[4:7] offset:20736
	ds_load_b128 v[0:3], v56 offset:7776
	ds_load_b128 v[4:7], v10 offset:18144
	s_wait_dscnt 0x0
	v_add_f64_e32 v[8:9], v[0:1], v[4:5]
	v_add_f64_e32 v[11:12], v[6:7], v[2:3]
	v_add_f64_e64 v[13:14], v[0:1], -v[4:5]
	v_add_f64_e64 v[0:1], v[2:3], -v[6:7]
	s_wait_loadcnt 0x1
	s_delay_alu instid0(VALU_DEP_2) | instskip(NEXT) | instid1(VALU_DEP_2)
	v_fma_f64 v[2:3], v[13:14], v[21:22], v[8:9]
	v_fma_f64 v[4:5], v[11:12], v[21:22], v[0:1]
	v_fma_f64 v[6:7], -v[13:14], v[21:22], v[8:9]
	v_fma_f64 v[8:9], v[11:12], v[21:22], -v[0:1]
	s_delay_alu instid0(VALU_DEP_4) | instskip(NEXT) | instid1(VALU_DEP_4)
	v_fma_f64 v[0:1], -v[11:12], v[19:20], v[2:3]
	v_fma_f64 v[2:3], v[13:14], v[19:20], v[4:5]
	s_delay_alu instid0(VALU_DEP_4) | instskip(NEXT) | instid1(VALU_DEP_4)
	v_fma_f64 v[4:5], v[11:12], v[19:20], v[6:7]
	v_fma_f64 v[6:7], v[13:14], v[19:20], v[8:9]
	ds_store_b128 v56, v[0:3] offset:7776
	ds_store_b128 v10, v[4:7] offset:18144
	ds_load_b128 v[0:3], v56 offset:10368
	ds_load_b128 v[4:7], v10 offset:15552
	s_wait_dscnt 0x0
	v_add_f64_e32 v[8:9], v[0:1], v[4:5]
	v_add_f64_e32 v[11:12], v[6:7], v[2:3]
	v_add_f64_e64 v[13:14], v[0:1], -v[4:5]
	v_add_f64_e64 v[0:1], v[2:3], -v[6:7]
	s_wait_loadcnt 0x0
	s_delay_alu instid0(VALU_DEP_2) | instskip(NEXT) | instid1(VALU_DEP_2)
	v_fma_f64 v[2:3], v[13:14], v[17:18], v[8:9]
	v_fma_f64 v[4:5], v[11:12], v[17:18], v[0:1]
	v_fma_f64 v[6:7], -v[13:14], v[17:18], v[8:9]
	v_fma_f64 v[8:9], v[11:12], v[17:18], -v[0:1]
	s_delay_alu instid0(VALU_DEP_4) | instskip(NEXT) | instid1(VALU_DEP_4)
	v_fma_f64 v[0:1], -v[11:12], v[15:16], v[2:3]
	v_fma_f64 v[2:3], v[13:14], v[15:16], v[4:5]
	s_delay_alu instid0(VALU_DEP_4) | instskip(NEXT) | instid1(VALU_DEP_4)
	v_fma_f64 v[4:5], v[11:12], v[15:16], v[6:7]
	v_fma_f64 v[6:7], v[13:14], v[15:16], v[8:9]
	ds_store_b128 v56, v[0:3] offset:10368
	ds_store_b128 v10, v[4:7] offset:15552
	global_wb scope:SCOPE_SE
	s_wait_dscnt 0x0
	s_barrier_signal -1
	s_barrier_wait -1
	global_inv scope:SCOPE_SE
	global_wb scope:SCOPE_SE
	s_barrier_signal -1
	s_barrier_wait -1
	global_inv scope:SCOPE_SE
	ds_load_b128 v[0:3], v56 offset:12960
	ds_load_b128 v[4:7], v56 offset:18144
	;; [unrolled: 1-line block ×9, first 2 shown]
	ds_load_b128 v[36:39], v56
	global_wb scope:SCOPE_SE
	s_wait_dscnt 0x0
	s_barrier_signal -1
	s_barrier_wait -1
	global_inv scope:SCOPE_SE
	v_add_f64_e32 v[40:41], v[2:3], v[6:7]
	v_add_f64_e32 v[44:45], v[0:1], v[4:5]
	;; [unrolled: 1-line block ×4, first 2 shown]
	v_add_f64_e64 v[54:55], v[12:13], -v[8:9]
	v_add_f64_e64 v[57:58], v[0:1], -v[4:5]
	;; [unrolled: 1-line block ×3, first 2 shown]
	v_add_f64_e32 v[61:62], v[20:21], v[24:25]
	v_add_f64_e32 v[63:64], v[16:17], v[28:29]
	;; [unrolled: 1-line block ×4, first 2 shown]
	v_add_f64_e64 v[69:70], v[12:13], -v[0:1]
	v_add_f64_e64 v[71:72], v[8:9], -v[4:5]
	;; [unrolled: 1-line block ×7, first 2 shown]
	v_add_f64_e32 v[89:90], v[36:37], v[16:17]
	v_add_f64_e32 v[91:92], v[38:39], v[18:19]
	;; [unrolled: 1-line block ×3, first 2 shown]
	v_add_f64_e64 v[93:94], v[4:5], -v[8:9]
	v_fma_f64 v[40:41], v[40:41], -0.5, v[34:35]
	v_fma_f64 v[44:45], v[44:45], -0.5, v[32:33]
	;; [unrolled: 1-line block ×4, first 2 shown]
	v_add_f64_e32 v[32:33], v[32:33], v[12:13]
	v_add_f64_e64 v[34:35], v[18:19], -v[30:31]
	v_add_f64_e64 v[12:13], v[0:1], -v[12:13]
	v_fma_f64 v[61:62], v[61:62], -0.5, v[36:37]
	v_fma_f64 v[36:37], v[63:64], -0.5, v[36:37]
	;; [unrolled: 1-line block ×4, first 2 shown]
	v_add_f64_e64 v[65:66], v[22:23], -v[26:27]
	v_add_f64_e64 v[67:68], v[16:17], -v[28:29]
	v_add_f64_e32 v[69:70], v[69:70], v[71:72]
	v_add_f64_e64 v[71:72], v[20:21], -v[24:25]
	v_add_f64_e32 v[75:76], v[75:76], v[77:78]
	v_add_f64_e32 v[79:80], v[79:80], v[81:82]
	;; [unrolled: 1-line block ×3, first 2 shown]
	s_wait_alu 0xfffe
	v_fma_f64 v[83:84], v[54:55], s[0:1], v[40:41]
	v_fma_f64 v[87:88], v[59:60], s[4:5], v[44:45]
	;; [unrolled: 1-line block ×8, first 2 shown]
	v_add_f64_e32 v[0:1], v[32:33], v[0:1]
	v_add_f64_e32 v[12:13], v[12:13], v[93:94]
	v_add_f64_e64 v[93:94], v[26:27], -v[30:31]
	v_fma_f64 v[14:15], v[34:35], s[4:5], v[61:62]
	v_fma_f64 v[32:33], v[34:35], s[0:1], v[61:62]
	;; [unrolled: 1-line block ×4, first 2 shown]
	v_add_f64_e32 v[2:3], v[2:3], v[6:7]
	v_fma_f64 v[81:82], v[57:58], s[2:3], v[83:84]
	v_fma_f64 v[83:84], v[54:55], s[2:3], v[85:86]
	v_fma_f64 v[42:43], v[54:55], s[12:13], v[42:43]
	v_fma_f64 v[54:55], v[73:74], s[12:13], v[87:88]
	v_fma_f64 v[40:41], v[57:58], s[12:13], v[40:41]
	v_add_f64_e64 v[57:58], v[16:17], -v[20:21]
	v_add_f64_e64 v[16:17], v[20:21], -v[16:17]
	;; [unrolled: 1-line block ×4, first 2 shown]
	v_add_f64_e32 v[20:21], v[89:90], v[20:21]
	v_add_f64_e32 v[22:23], v[91:92], v[22:23]
	v_add_f64_e64 v[87:88], v[28:29], -v[24:25]
	v_add_f64_e64 v[91:92], v[30:31], -v[26:27]
	v_fma_f64 v[44:45], v[73:74], s[2:3], v[44:45]
	v_fma_f64 v[73:74], v[67:68], s[0:1], v[63:64]
	;; [unrolled: 1-line block ×7, first 2 shown]
	v_add_f64_e64 v[89:90], v[24:25], -v[28:29]
	v_add_f64_e32 v[0:1], v[0:1], v[4:5]
	v_fma_f64 v[4:5], v[65:66], s[12:13], v[14:15]
	v_fma_f64 v[6:7], v[65:66], s[2:3], v[32:33]
	;; [unrolled: 1-line block ×3, first 2 shown]
	v_add_f64_e32 v[2:3], v[2:3], v[10:11]
	v_fma_f64 v[81:82], v[75:76], s[14:15], v[81:82]
	v_fma_f64 v[83:84], v[79:80], s[14:15], v[83:84]
	;; [unrolled: 1-line block ×5, first 2 shown]
	v_add_f64_e32 v[18:19], v[18:19], v[93:94]
	v_add_f64_e32 v[20:21], v[20:21], v[24:25]
	;; [unrolled: 1-line block ×5, first 2 shown]
	v_fma_f64 v[24:25], v[34:35], s[2:3], v[36:37]
	v_fma_f64 v[26:27], v[71:72], s[2:3], v[73:74]
	;; [unrolled: 1-line block ×8, first 2 shown]
	v_add_f64_e32 v[16:17], v[16:17], v[89:90]
	v_add_f64_e32 v[0:1], v[0:1], v[8:9]
	v_mul_f64_e32 v[46:47], s[12:13], v[81:82]
	v_mul_f64_e32 v[59:60], s[4:5], v[83:84]
	;; [unrolled: 1-line block ×8, first 2 shown]
	v_add_f64_e32 v[20:21], v[20:21], v[28:29]
	v_add_f64_e32 v[22:23], v[22:23], v[30:31]
	v_fma_f64 v[28:29], v[57:58], s[14:15], v[4:5]
	v_fma_f64 v[30:31], v[57:58], s[14:15], v[6:7]
	;; [unrolled: 1-line block ×16, first 2 shown]
	v_cmp_gt_u32_e64 s0, 54, v50
	v_add_f64_e32 v[4:5], v[20:21], v[0:1]
	v_add_f64_e32 v[6:7], v[22:23], v[2:3]
	v_add_f64_e64 v[8:9], v[20:21], -v[0:1]
	v_add_f64_e64 v[10:11], v[22:23], -v[2:3]
	v_add_f64_e32 v[12:13], v[28:29], v[32:33]
	v_add_f64_e64 v[28:29], v[28:29], -v[32:33]
	v_add_f64_e32 v[16:17], v[57:58], v[36:37]
	v_add_f64_e32 v[18:19], v[34:35], v[44:45]
	;; [unrolled: 1-line block ×7, first 2 shown]
	v_add_f64_e64 v[0:1], v[30:31], -v[54:55]
	v_add_f64_e64 v[30:31], v[71:72], -v[59:60]
	;; [unrolled: 1-line block ×7, first 2 shown]
	v_mad_u32_u24 v40, 0x90, v50, v56
	ds_store_b128 v40, v[4:7]
	ds_store_b128 v40, v[12:15] offset:16
	ds_store_b128 v40, v[16:19] offset:32
	ds_store_b128 v40, v[20:23] offset:48
	ds_store_b128 v40, v[24:27] offset:64
	ds_store_b128 v40, v[8:11] offset:80
	ds_store_b128 v40, v[28:31] offset:96
	ds_store_b128 v40, v[32:35] offset:112
	ds_store_b128 v40, v[36:39] offset:128
	ds_store_b128 v40, v[0:3] offset:144
	global_wb scope:SCOPE_SE
	s_wait_dscnt 0x0
	s_barrier_signal -1
	s_barrier_wait -1
	global_inv scope:SCOPE_SE
	ds_load_b128 v[12:15], v56
	ds_load_b128 v[8:11], v56 offset:2592
	ds_load_b128 v[40:43], v56 offset:17280
	;; [unrolled: 1-line block ×8, first 2 shown]
                                        ; implicit-def: $vgpr30_vgpr31
                                        ; implicit-def: $vgpr26_vgpr27
	s_and_saveexec_b32 s1, s0
	s_cbranch_execz .LBB0_21
; %bb.20:
	ds_load_b128 v[0:3], v56 offset:7776
	ds_load_b128 v[24:27], v56 offset:16416
	;; [unrolled: 1-line block ×3, first 2 shown]
.LBB0_21:
	s_wait_alu 0xfffe
	s_or_b32 exec_lo, exec_lo, s1
	v_and_b32_e32 v60, 0xff, v50
	v_add_nc_u32_e32 v57, 0xa2, v50
	v_add_nc_u32_e32 v58, 0x144, v50
	s_mov_b32 s2, 0xe8584caa
	s_mov_b32 s3, 0xbfebb67a
	v_mul_lo_u16 v51, 0xcd, v60
	v_and_b32_e32 v54, 0xffff, v57
	s_mov_b32 s5, 0x3febb67a
	s_wait_alu 0xfffe
	s_mov_b32 s4, s2
	v_lshrrev_b16 v97, 11, v51
	v_mul_u32_u24_e32 v55, 0xcccd, v54
	s_delay_alu instid0(VALU_DEP_2) | instskip(NEXT) | instid1(VALU_DEP_2)
	v_mul_lo_u16 v51, v97, 10
	v_lshrrev_b32_e32 v99, 19, v55
	s_delay_alu instid0(VALU_DEP_2) | instskip(NEXT) | instid1(VALU_DEP_2)
	v_sub_nc_u16 v51, v50, v51
	v_mul_lo_u16 v55, v99, 10
	s_delay_alu instid0(VALU_DEP_2) | instskip(NEXT) | instid1(VALU_DEP_2)
	v_and_b32_e32 v98, 0xff, v51
	v_sub_nc_u16 v55, v57, v55
	s_delay_alu instid0(VALU_DEP_2) | instskip(NEXT) | instid1(VALU_DEP_2)
	v_lshlrev_b32_e32 v51, 5, v98
	v_and_b32_e32 v100, 0xffff, v55
	v_and_b32_e32 v55, 0xffff, v58
	s_clause 0x1
	global_load_b128 v[61:64], v51, s[8:9]
	global_load_b128 v[65:68], v51, s[8:9] offset:16
	v_lshlrev_b32_e32 v51, 5, v100
	s_clause 0x1
	global_load_b128 v[69:72], v51, s[8:9]
	global_load_b128 v[73:76], v51, s[8:9] offset:16
	v_mul_u32_u24_e32 v51, 0xcccd, v55
	s_delay_alu instid0(VALU_DEP_1) | instskip(NEXT) | instid1(VALU_DEP_1)
	v_lshrrev_b32_e32 v101, 19, v51
	v_mul_lo_u16 v51, v101, 10
	s_delay_alu instid0(VALU_DEP_1) | instskip(NEXT) | instid1(VALU_DEP_1)
	v_sub_nc_u16 v51, v58, v51
	v_and_b32_e32 v102, 0xffff, v51
	v_add_nc_u32_e32 v51, 0x1e6, v50
	s_delay_alu instid0(VALU_DEP_2) | instskip(NEXT) | instid1(VALU_DEP_2)
	v_lshlrev_b32_e32 v87, 5, v102
	v_and_b32_e32 v59, 0xffff, v51
	s_wait_loadcnt_dscnt 0x304
	v_mul_f64_e32 v[77:78], v[46:47], v[63:64]
	v_mul_f64_e32 v[63:64], v[44:45], v[63:64]
	s_wait_loadcnt 0x2
	v_mul_f64_e32 v[81:82], v[42:43], v[67:68]
	v_mul_f64_e32 v[67:68], v[40:41], v[67:68]
	s_wait_loadcnt_dscnt 0x102
	v_mul_f64_e32 v[85:86], v[38:39], v[71:72]
	v_mul_f64_e32 v[71:72], v[36:37], v[71:72]
	v_fma_f64 v[83:84], v[44:45], v[61:62], v[77:78]
	global_load_b128 v[77:80], v87, s[8:9]
	v_mul_u32_u24_e32 v44, 0xcccd, v59
	v_fma_f64 v[46:47], v[46:47], v[61:62], -v[63:64]
	v_fma_f64 v[81:82], v[40:41], v[65:66], v[81:82]
	v_fma_f64 v[65:66], v[42:43], v[65:66], -v[67:68]
	s_delay_alu instid0(VALU_DEP_4)
	v_lshrrev_b32_e32 v44, 19, v44
	v_fma_f64 v[67:68], v[36:37], v[69:70], v[85:86]
	v_fma_f64 v[69:70], v[38:39], v[69:70], -v[71:72]
	s_wait_loadcnt 0x1
	v_mul_f64_e32 v[71:72], v[34:35], v[75:76]
	v_mul_f64_e32 v[75:76], v[32:33], v[75:76]
	v_mul_lo_u16 v45, v44, 10
	s_delay_alu instid0(VALU_DEP_1) | instskip(NEXT) | instid1(VALU_DEP_1)
	v_sub_nc_u16 v45, v51, v45
	v_and_b32_e32 v45, 0xffff, v45
	s_delay_alu instid0(VALU_DEP_1)
	v_lshlrev_b32_e32 v88, 5, v45
	s_clause 0x2
	global_load_b128 v[40:43], v87, s[8:9] offset:16
	global_load_b128 v[61:64], v88, s[8:9]
	global_load_b128 v[36:39], v88, s[8:9] offset:16
	global_wb scope:SCOPE_SE
	s_wait_loadcnt_dscnt 0x0
	s_barrier_signal -1
	s_barrier_wait -1
	global_inv scope:SCOPE_SE
	v_fma_f64 v[32:33], v[32:33], v[73:74], v[71:72]
	v_fma_f64 v[34:35], v[34:35], v[73:74], -v[75:76]
	v_mul_f64_e32 v[71:72], v[20:21], v[79:80]
	v_mul_f64_e32 v[85:86], v[22:23], v[79:80]
	v_add_f64_e32 v[79:80], v[8:9], v[67:68]
	v_mul_f64_e32 v[73:74], v[18:19], v[42:43]
	v_mul_f64_e32 v[42:43], v[16:17], v[42:43]
	;; [unrolled: 1-line block ×4, first 2 shown]
	v_fma_f64 v[22:23], v[22:23], v[77:78], -v[71:72]
	v_mul_f64_e32 v[71:72], v[30:31], v[38:39]
	v_mul_f64_e32 v[38:39], v[28:29], v[38:39]
	v_fma_f64 v[20:21], v[20:21], v[77:78], v[85:86]
	v_add_f64_e32 v[77:78], v[14:15], v[46:47]
	v_add_f64_e32 v[85:86], v[10:11], v[69:70]
	v_fma_f64 v[16:17], v[16:17], v[40:41], v[73:74]
	v_fma_f64 v[18:19], v[18:19], v[40:41], -v[42:43]
	v_fma_f64 v[24:25], v[24:25], v[61:62], v[75:76]
	v_fma_f64 v[26:27], v[26:27], v[61:62], -v[63:64]
	v_add_f64_e32 v[40:41], v[67:68], v[32:33]
	v_add_f64_e32 v[42:43], v[69:70], v[34:35]
	;; [unrolled: 1-line block ×3, first 2 shown]
	v_add_f64_e64 v[69:70], v[69:70], -v[34:35]
	v_add_f64_e64 v[67:68], v[67:68], -v[32:33]
	v_fma_f64 v[28:29], v[28:29], v[36:37], v[71:72]
	v_fma_f64 v[30:31], v[30:31], v[36:37], -v[38:39]
	v_add_f64_e32 v[36:37], v[83:84], v[81:82]
	v_add_f64_e32 v[38:39], v[46:47], v[65:66]
	;; [unrolled: 1-line block ×3, first 2 shown]
	v_add_f64_e64 v[46:47], v[46:47], -v[65:66]
	v_add_f64_e64 v[83:84], v[83:84], -v[81:82]
	v_add_f64_e32 v[61:62], v[20:21], v[16:17]
	v_add_f64_e32 v[63:64], v[22:23], v[18:19]
	;; [unrolled: 1-line block ×4, first 2 shown]
	v_fma_f64 v[40:41], v[40:41], -0.5, v[8:9]
	v_fma_f64 v[42:43], v[42:43], -0.5, v[10:11]
	v_add_f64_e64 v[20:21], v[20:21], -v[16:17]
	v_add_f64_e32 v[8:9], v[79:80], v[32:33]
	v_add_f64_e32 v[10:11], v[85:86], v[34:35]
	;; [unrolled: 1-line block ×4, first 2 shown]
	v_fma_f64 v[36:37], v[36:37], -0.5, v[12:13]
	v_fma_f64 v[38:39], v[38:39], -0.5, v[14:15]
	v_add_f64_e32 v[14:15], v[6:7], v[22:23]
	v_add_f64_e64 v[22:23], v[22:23], -v[18:19]
	v_add_f64_e64 v[93:94], v[26:27], -v[30:31]
	;; [unrolled: 1-line block ×3, first 2 shown]
	v_add_f64_e32 v[12:13], v[87:88], v[16:17]
	v_fma_f64 v[61:62], v[61:62], -0.5, v[4:5]
	v_fma_f64 v[63:64], v[63:64], -0.5, v[6:7]
	v_add_f64_e32 v[4:5], v[75:76], v[81:82]
	v_add_f64_e32 v[6:7], v[77:78], v[65:66]
	v_fma_f64 v[32:33], v[69:70], s[2:3], v[40:41]
	s_wait_alu 0xfffe
	v_fma_f64 v[34:35], v[67:68], s[4:5], v[42:43]
	v_mul_u32_u24_e32 v65, 0x1e0, v99
	v_mul_u32_u24_e32 v66, 0x1e0, v101
	v_fma_f64 v[71:72], v[71:72], -0.5, v[0:1]
	v_fma_f64 v[73:74], v[73:74], -0.5, v[2:3]
	v_add_f64_e32 v[0:1], v[89:90], v[28:29]
	v_add_f64_e32 v[2:3], v[91:92], v[30:31]
	v_add_f64_e32 v[14:15], v[14:15], v[18:19]
	v_fma_f64 v[24:25], v[46:47], s[2:3], v[36:37]
	v_fma_f64 v[28:29], v[46:47], s[4:5], v[36:37]
	;; [unrolled: 1-line block ×6, first 2 shown]
	v_and_b32_e32 v46, 0xffff, v97
	v_lshlrev_b32_e32 v47, 4, v98
	v_lshlrev_b32_e32 v67, 4, v102
	s_delay_alu instid0(VALU_DEP_3) | instskip(NEXT) | instid1(VALU_DEP_1)
	v_mul_u32_u24_e32 v46, 0x1e0, v46
	v_add3_u32 v46, 0, v46, v47
	v_lshlrev_b32_e32 v47, 4, v100
	s_delay_alu instid0(VALU_DEP_1)
	v_add3_u32 v47, 0, v65, v47
	v_fma_f64 v[40:41], v[22:23], s[2:3], v[61:62]
	v_fma_f64 v[61:62], v[22:23], s[4:5], v[61:62]
	;; [unrolled: 1-line block ×4, first 2 shown]
	v_add3_u32 v65, 0, v66, v67
	ds_store_b128 v46, v[4:7]
	ds_store_b128 v46, v[24:27] offset:160
	ds_store_b128 v46, v[28:31] offset:320
	ds_store_b128 v47, v[8:11]
	ds_store_b128 v47, v[32:35] offset:160
	ds_store_b128 v47, v[36:39] offset:320
	;; [unrolled: 3-line block ×3, first 2 shown]
	v_fma_f64 v[16:17], v[93:94], s[2:3], v[71:72]
	v_fma_f64 v[20:21], v[93:94], s[4:5], v[71:72]
	;; [unrolled: 1-line block ×4, first 2 shown]
	s_and_saveexec_b32 s1, s0
	s_cbranch_execz .LBB0_23
; %bb.22:
	v_mul_lo_u16 v4, v44, 30
	v_lshlrev_b32_e32 v5, 4, v45
	s_delay_alu instid0(VALU_DEP_2) | instskip(NEXT) | instid1(VALU_DEP_1)
	v_and_b32_e32 v4, 0xffff, v4
	v_lshlrev_b32_e32 v4, 4, v4
	s_delay_alu instid0(VALU_DEP_1)
	v_add3_u32 v4, 0, v5, v4
	ds_store_b128 v4, v[0:3]
	ds_store_b128 v4, v[16:19] offset:160
	ds_store_b128 v4, v[20:23] offset:320
.LBB0_23:
	s_wait_alu 0xfffe
	s_or_b32 exec_lo, exec_lo, s1
	global_wb scope:SCOPE_SE
	s_wait_dscnt 0x0
	s_barrier_signal -1
	s_barrier_wait -1
	global_inv scope:SCOPE_SE
	ds_load_b128 v[8:11], v56
	ds_load_b128 v[4:7], v56 offset:2592
	ds_load_b128 v[40:43], v56 offset:17280
	;; [unrolled: 1-line block ×8, first 2 shown]
	s_and_saveexec_b32 s1, s0
	s_cbranch_execz .LBB0_25
; %bb.24:
	ds_load_b128 v[0:3], v56 offset:7776
	ds_load_b128 v[16:19], v56 offset:16416
	;; [unrolled: 1-line block ×3, first 2 shown]
.LBB0_25:
	s_wait_alu 0xfffe
	s_or_b32 exec_lo, exec_lo, s1
	v_mul_lo_u16 v60, 0x89, v60
	v_mul_u32_u24_e32 v65, 0x8889, v54
	v_mul_u32_u24_e32 v55, 0x8889, v55
	;; [unrolled: 1-line block ×3, first 2 shown]
	s_mov_b32 s4, s2
	v_lshrrev_b16 v104, 12, v60
	v_lshrrev_b32_e32 v106, 20, v65
	v_lshrrev_b32_e32 v107, 20, v55
	;; [unrolled: 1-line block ×3, first 2 shown]
	s_delay_alu instid0(VALU_DEP_4) | instskip(NEXT) | instid1(VALU_DEP_4)
	v_mul_lo_u16 v60, v104, 30
	v_mul_lo_u16 v68, v106, 30
	s_delay_alu instid0(VALU_DEP_4) | instskip(NEXT) | instid1(VALU_DEP_4)
	v_mul_lo_u16 v59, v107, 30
	v_mul_lo_u16 v69, v55, 30
	s_delay_alu instid0(VALU_DEP_4) | instskip(NEXT) | instid1(VALU_DEP_4)
	v_sub_nc_u16 v60, v50, v60
	v_sub_nc_u16 v68, v57, v68
	s_delay_alu instid0(VALU_DEP_4) | instskip(NEXT) | instid1(VALU_DEP_3)
	v_sub_nc_u16 v59, v58, v59
	v_and_b32_e32 v105, 0xff, v60
	s_delay_alu instid0(VALU_DEP_3) | instskip(SKIP_1) | instid1(VALU_DEP_4)
	v_and_b32_e32 v108, 0xffff, v68
	v_sub_nc_u16 v68, v51, v69
	v_and_b32_e32 v109, 0xffff, v59
	s_delay_alu instid0(VALU_DEP_4) | instskip(NEXT) | instid1(VALU_DEP_4)
	v_lshlrev_b32_e32 v64, 5, v105
	v_lshlrev_b32_e32 v72, 5, v108
	s_delay_alu instid0(VALU_DEP_4) | instskip(NEXT) | instid1(VALU_DEP_4)
	v_and_b32_e32 v59, 0xffff, v68
	v_lshlrev_b32_e32 v80, 5, v109
	s_clause 0x1
	global_load_b128 v[60:63], v64, s[8:9] offset:320
	global_load_b128 v[64:67], v64, s[8:9] offset:336
	v_lshlrev_b32_e32 v88, 5, v59
	s_clause 0x5
	global_load_b128 v[68:71], v72, s[8:9] offset:320
	global_load_b128 v[72:75], v72, s[8:9] offset:336
	;; [unrolled: 1-line block ×6, first 2 shown]
	global_wb scope:SCOPE_SE
	s_wait_loadcnt_dscnt 0x0
	s_barrier_signal -1
	s_barrier_wait -1
	global_inv scope:SCOPE_SE
	v_mul_f64_e32 v[92:93], v[46:47], v[62:63]
	v_mul_f64_e32 v[62:63], v[44:45], v[62:63]
	;; [unrolled: 1-line block ×11, first 2 shown]
	v_fma_f64 v[44:45], v[44:45], v[60:61], v[92:93]
	v_fma_f64 v[46:47], v[46:47], v[60:61], -v[62:63]
	v_mul_f64_e32 v[60:61], v[32:33], v[82:83]
	v_mul_f64_e32 v[62:63], v[18:19], v[86:87]
	;; [unrolled: 1-line block ×4, first 2 shown]
	v_fma_f64 v[40:41], v[40:41], v[64:65], v[94:95]
	v_fma_f64 v[42:43], v[42:43], v[64:65], -v[66:67]
	v_mul_f64_e32 v[64:65], v[20:21], v[90:91]
	v_fma_f64 v[36:37], v[36:37], v[68:69], v[96:97]
	v_fma_f64 v[66:67], v[24:25], v[72:73], v[98:99]
	v_fma_f64 v[24:25], v[38:39], v[68:69], -v[70:71]
	v_fma_f64 v[38:39], v[26:27], v[72:73], -v[74:75]
	v_fma_f64 v[26:27], v[28:29], v[76:77], v[100:101]
	v_fma_f64 v[32:33], v[32:33], v[80:81], v[102:103]
	v_fma_f64 v[28:29], v[30:31], v[76:77], -v[78:79]
	v_add_f64_e32 v[76:77], v[8:9], v[44:45]
	v_add_f64_e32 v[78:79], v[10:11], v[46:47]
	v_fma_f64 v[34:35], v[34:35], v[80:81], -v[60:61]
	v_fma_f64 v[16:17], v[16:17], v[84:85], v[62:63]
	v_fma_f64 v[18:19], v[18:19], v[84:85], -v[82:83]
	v_fma_f64 v[20:21], v[20:21], v[88:89], v[86:87]
	v_add_f64_e32 v[30:31], v[44:45], v[40:41]
	v_add_f64_e32 v[60:61], v[46:47], v[42:43]
	v_fma_f64 v[22:23], v[22:23], v[88:89], -v[64:65]
	v_add_f64_e32 v[80:81], v[4:5], v[36:37]
	v_add_f64_e32 v[62:63], v[36:37], v[66:67]
	;; [unrolled: 1-line block ×7, first 2 shown]
	v_add_f64_e64 v[46:47], v[46:47], -v[42:43]
	v_add_f64_e64 v[44:45], v[44:45], -v[40:41]
	;; [unrolled: 1-line block ×3, first 2 shown]
	v_add_f64_e32 v[26:27], v[78:79], v[42:43]
	v_add_f64_e32 v[70:71], v[28:29], v[34:35]
	;; [unrolled: 1-line block ×5, first 2 shown]
	v_fma_f64 v[8:9], v[30:31], -0.5, v[8:9]
	v_fma_f64 v[10:11], v[60:61], -0.5, v[10:11]
	v_add_f64_e32 v[74:75], v[18:19], v[22:23]
	v_add_f64_e64 v[60:61], v[24:25], -v[38:39]
	v_fma_f64 v[4:5], v[62:63], -0.5, v[4:5]
	v_add_f64_e64 v[62:63], v[36:37], -v[66:67]
	v_fma_f64 v[6:7], v[64:65], -0.5, v[6:7]
	v_add_f64_e64 v[64:65], v[28:29], -v[34:35]
	v_fma_f64 v[68:69], v[68:69], -0.5, v[12:13]
	v_add_f64_e64 v[18:19], v[18:19], -v[22:23]
	v_add_f64_e64 v[94:95], v[16:17], -v[20:21]
	v_add_f64_e32 v[24:25], v[76:77], v[40:41]
	v_add_f64_e32 v[30:31], v[82:83], v[38:39]
	v_add_f64_e32 v[28:29], v[80:81], v[66:67]
	v_fma_f64 v[70:71], v[70:71], -0.5, v[14:15]
	v_add_f64_e32 v[12:13], v[88:89], v[20:21]
	v_add_f64_e32 v[14:15], v[90:91], v[22:23]
	v_fma_f64 v[72:73], v[72:73], -0.5, v[0:1]
	v_add_f64_e32 v[0:1], v[84:85], v[32:33]
	v_fma_f64 v[32:33], v[46:47], s[2:3], v[8:9]
	v_fma_f64 v[74:75], v[74:75], -0.5, v[2:3]
	v_add_f64_e32 v[2:3], v[86:87], v[34:35]
	s_wait_alu 0xfffe
	v_fma_f64 v[36:37], v[46:47], s[4:5], v[8:9]
	v_fma_f64 v[34:35], v[44:45], s[4:5], v[10:11]
	;; [unrolled: 1-line block ×9, first 2 shown]
	v_and_b32_e32 v60, 0xffff, v104
	v_lshlrev_b32_e32 v63, 4, v105
	v_mul_u32_u24_e32 v61, 0x5a0, v106
	v_lshlrev_b32_e32 v64, 4, v108
	v_mul_u32_u24_e32 v62, 0x5a0, v107
	v_mul_u32_u24_e32 v60, 0x5a0, v60
	v_lshlrev_b32_e32 v65, 4, v109
	s_delay_alu instid0(VALU_DEP_4) | instskip(NEXT) | instid1(VALU_DEP_3)
	v_add3_u32 v61, 0, v61, v64
	v_add3_u32 v60, 0, v60, v63
	s_delay_alu instid0(VALU_DEP_3)
	v_add3_u32 v62, 0, v62, v65
	v_fma_f64 v[6:7], v[92:93], s[4:5], v[70:71]
	v_fma_f64 v[10:11], v[92:93], s[2:3], v[70:71]
	ds_store_b128 v60, v[24:27]
	ds_store_b128 v60, v[32:35] offset:480
	ds_store_b128 v60, v[36:39] offset:960
	ds_store_b128 v61, v[28:31]
	ds_store_b128 v61, v[40:43] offset:480
	ds_store_b128 v61, v[44:47] offset:960
	;; [unrolled: 3-line block ×3, first 2 shown]
	v_fma_f64 v[16:17], v[18:19], s[2:3], v[72:73]
	v_fma_f64 v[20:21], v[18:19], s[4:5], v[72:73]
	;; [unrolled: 1-line block ×4, first 2 shown]
	s_and_saveexec_b32 s1, s0
	s_cbranch_execz .LBB0_27
; %bb.26:
	v_mul_lo_u16 v24, 0x5a, v55
	v_lshlrev_b32_e32 v25, 4, v59
	s_delay_alu instid0(VALU_DEP_2) | instskip(NEXT) | instid1(VALU_DEP_1)
	v_and_b32_e32 v24, 0xffff, v24
	v_lshlrev_b32_e32 v24, 4, v24
	s_delay_alu instid0(VALU_DEP_1)
	v_add3_u32 v24, 0, v25, v24
	ds_store_b128 v24, v[12:15]
	ds_store_b128 v24, v[16:19] offset:480
	ds_store_b128 v24, v[20:23] offset:960
.LBB0_27:
	s_wait_alu 0xfffe
	s_or_b32 exec_lo, exec_lo, s1
	global_wb scope:SCOPE_SE
	s_wait_dscnt 0x0
	s_barrier_signal -1
	s_barrier_wait -1
	global_inv scope:SCOPE_SE
	ds_load_b128 v[24:27], v56
	ds_load_b128 v[28:31], v56 offset:4320
	ds_load_b128 v[32:35], v56 offset:8640
	;; [unrolled: 1-line block ×5, first 2 shown]
	v_cmp_gt_u32_e64 s1, 0x6c, v50
	s_delay_alu instid0(VALU_DEP_1)
	s_and_saveexec_b32 s2, s1
	s_cbranch_execz .LBB0_29
; %bb.28:
	ds_load_b128 v[0:3], v56 offset:2592
	ds_load_b128 v[4:7], v56 offset:6912
	ds_load_b128 v[8:11], v56 offset:11232
	ds_load_b128 v[12:15], v56 offset:15552
	ds_load_b128 v[16:19], v56 offset:19872
	ds_load_b128 v[20:23], v56 offset:24192
.LBB0_29:
	s_wait_alu 0xfffe
	s_or_b32 exec_lo, exec_lo, s2
	v_mul_u32_u24_e32 v54, 0x2d83, v54
	v_dual_mov_b32 v60, 0 :: v_dual_add_nc_u32 v55, 0xffffffa6, v50
	v_cmp_gt_u32_e64 s2, 0x5a, v50
	s_delay_alu instid0(VALU_DEP_3) | instskip(SKIP_1) | instid1(VALU_DEP_2)
	v_lshrrev_b32_e32 v54, 20, v54
	s_wait_alu 0xf1ff
	v_cndmask_b32_e64 v109, v55, v50, s2
	s_delay_alu instid0(VALU_DEP_2) | instskip(NEXT) | instid1(VALU_DEP_2)
	v_mul_lo_u16 v55, 0x5a, v54
	v_mul_i32_i24_e32 v59, 5, v109
	s_delay_alu instid0(VALU_DEP_2) | instskip(NEXT) | instid1(VALU_DEP_2)
	v_sub_nc_u16 v55, v57, v55
	v_lshlrev_b64_e32 v[59:60], 4, v[59:60]
	s_delay_alu instid0(VALU_DEP_2) | instskip(NEXT) | instid1(VALU_DEP_2)
	v_and_b32_e32 v55, 0xffff, v55
	v_add_co_u32 v87, s2, s8, v59
	s_wait_alu 0xf1ff
	s_delay_alu instid0(VALU_DEP_3) | instskip(NEXT) | instid1(VALU_DEP_3)
	v_add_co_ci_u32_e64 v88, s2, s9, v60, s2
	v_mul_u32_u24_e32 v67, 5, v55
	s_clause 0x1
	global_load_b128 v[59:62], v[87:88], off offset:1312
	global_load_b128 v[63:66], v[87:88], off offset:1344
	s_mov_b32 s2, 0xe8584caa
	v_lshlrev_b32_e32 v95, 4, v67
	s_mov_b32 s3, 0xbfebb67a
	s_clause 0x7
	global_load_b128 v[67:70], v95, s[8:9] offset:1312
	global_load_b128 v[71:74], v95, s[8:9] offset:1344
	global_load_b128 v[75:78], v[87:88], off offset:1280
	global_load_b128 v[79:82], v95, s[8:9] offset:1280
	global_load_b128 v[83:86], v[87:88], off offset:1296
	global_load_b128 v[87:90], v[87:88], off offset:1328
	global_load_b128 v[91:94], v95, s[8:9] offset:1296
	global_load_b128 v[95:98], v95, s[8:9] offset:1328
	s_wait_alu 0xfffe
	s_mov_b32 s4, s2
	global_wb scope:SCOPE_SE
	s_wait_loadcnt_dscnt 0x0
	s_barrier_signal -1
	s_barrier_wait -1
	global_inv scope:SCOPE_SE
	v_mul_f64_e32 v[99:100], v[44:45], v[61:62]
	v_mul_f64_e32 v[101:102], v[40:41], v[65:66]
	;; [unrolled: 1-line block ×10, first 2 shown]
	v_fma_f64 v[46:47], v[46:47], v[59:60], -v[99:100]
	v_fma_f64 v[42:43], v[42:43], v[63:64], -v[101:102]
	v_mul_f64_e32 v[99:100], v[4:5], v[81:82]
	v_fma_f64 v[14:15], v[14:15], v[67:68], -v[103:104]
	v_fma_f64 v[22:23], v[22:23], v[71:72], -v[105:106]
	v_mul_f64_e32 v[101:102], v[34:35], v[85:86]
	v_fma_f64 v[44:45], v[44:45], v[59:60], v[61:62]
	v_mul_f64_e32 v[59:60], v[32:33], v[85:86]
	v_mul_f64_e32 v[61:62], v[38:39], v[89:90]
	v_mul_f64_e32 v[85:86], v[36:37], v[89:90]
	v_fma_f64 v[40:41], v[40:41], v[63:64], v[65:66]
	v_mul_f64_e32 v[63:64], v[10:11], v[93:94]
	v_fma_f64 v[30:31], v[30:31], v[75:76], -v[107:108]
	v_mul_f64_e32 v[89:90], v[8:9], v[93:94]
	v_mul_f64_e32 v[93:94], v[18:19], v[97:98]
	v_fma_f64 v[12:13], v[12:13], v[67:68], v[69:70]
	v_mul_f64_e32 v[67:68], v[16:17], v[97:98]
	v_mul_f64_e32 v[69:70], v[6:7], v[81:82]
	v_fma_f64 v[20:21], v[20:21], v[71:72], v[73:74]
	v_fma_f64 v[28:29], v[28:29], v[75:76], v[77:78]
	v_add_f64_e32 v[65:66], v[46:47], v[42:43]
	v_fma_f64 v[6:7], v[6:7], v[79:80], -v[99:100]
	v_add_f64_e64 v[75:76], v[46:47], -v[42:43]
	v_add_f64_e32 v[71:72], v[14:15], v[22:23]
	v_fma_f64 v[32:33], v[32:33], v[83:84], v[101:102]
	v_add_f64_e64 v[81:82], v[14:15], -v[22:23]
	v_fma_f64 v[34:35], v[34:35], v[83:84], -v[59:60]
	v_fma_f64 v[36:37], v[36:37], v[87:88], v[61:62]
	v_fma_f64 v[38:39], v[38:39], v[87:88], -v[85:86]
	v_add_f64_e32 v[59:60], v[44:45], v[40:41]
	v_add_f64_e64 v[61:62], v[44:45], -v[40:41]
	v_fma_f64 v[8:9], v[8:9], v[91:92], v[63:64]
	v_fma_f64 v[10:11], v[10:11], v[91:92], -v[89:90]
	v_fma_f64 v[16:17], v[16:17], v[95:96], v[93:94]
	v_fma_f64 v[18:19], v[18:19], v[95:96], -v[67:68]
	v_fma_f64 v[4:5], v[4:5], v[79:80], v[69:70]
	v_add_f64_e32 v[63:64], v[12:13], v[20:21]
	v_add_f64_e64 v[67:68], v[12:13], -v[20:21]
	v_fma_f64 v[65:66], v[65:66], -0.5, v[30:31]
	v_add_f64_e32 v[30:31], v[30:31], v[46:47]
	v_fma_f64 v[69:70], v[71:72], -0.5, v[6:7]
	v_add_f64_e32 v[6:7], v[6:7], v[14:15]
	v_add_f64_e32 v[71:72], v[32:33], v[36:37]
	;; [unrolled: 1-line block ×3, first 2 shown]
	v_fma_f64 v[59:60], v[59:60], -0.5, v[28:29]
	v_add_f64_e64 v[85:86], v[34:35], -v[38:39]
	v_add_f64_e32 v[34:35], v[26:27], v[34:35]
	v_add_f64_e32 v[28:29], v[28:29], v[44:45]
	;; [unrolled: 1-line block ×4, first 2 shown]
	v_add_f64_e64 v[46:47], v[10:11], -v[18:19]
	v_fma_f64 v[63:64], v[63:64], -0.5, v[4:5]
	v_add_f64_e32 v[10:11], v[2:3], v[10:11]
	v_add_f64_e32 v[4:5], v[4:5], v[12:13]
	s_wait_alu 0xfffe
	v_fma_f64 v[77:78], v[61:62], s[4:5], v[65:66]
	v_fma_f64 v[61:62], v[61:62], s[2:3], v[65:66]
	v_add_f64_e32 v[65:66], v[8:9], v[16:17]
	v_fma_f64 v[83:84], v[67:68], s[4:5], v[69:70]
	v_fma_f64 v[67:68], v[67:68], s[2:3], v[69:70]
	v_add_f64_e32 v[69:70], v[24:25], v[32:33]
	v_add_f64_e64 v[32:33], v[32:33], -v[36:37]
	v_add_f64_e64 v[8:9], v[8:9], -v[16:17]
	v_fma_f64 v[24:25], v[71:72], -0.5, v[24:25]
	v_fma_f64 v[26:27], v[73:74], -0.5, v[26:27]
	v_fma_f64 v[71:72], v[75:76], s[2:3], v[59:60]
	v_fma_f64 v[59:60], v[75:76], s[4:5], v[59:60]
	v_add_f64_e32 v[87:88], v[34:35], v[38:39]
	v_add_f64_e32 v[40:41], v[28:29], v[40:41]
	;; [unrolled: 1-line block ×3, first 2 shown]
	v_fma_f64 v[2:3], v[79:80], -0.5, v[2:3]
	v_add_f64_e32 v[12:13], v[44:45], v[16:17]
	v_add_f64_e32 v[22:23], v[6:7], v[22:23]
	;; [unrolled: 1-line block ×4, first 2 shown]
	v_mul_f64_e32 v[73:74], s[2:3], v[77:78]
	v_mul_f64_e32 v[75:76], s[2:3], v[61:62]
	v_mul_f64_e32 v[77:78], 0.5, v[77:78]
	v_fma_f64 v[0:1], v[65:66], -0.5, v[0:1]
	v_fma_f64 v[65:66], v[81:82], s[2:3], v[63:64]
	v_fma_f64 v[63:64], v[81:82], s[4:5], v[63:64]
	v_mul_f64_e32 v[79:80], s[2:3], v[83:84]
	v_mul_f64_e32 v[81:82], s[2:3], v[67:68]
	v_mul_f64_e32 v[83:84], 0.5, v[83:84]
	v_mul_f64_e32 v[67:68], -0.5, v[67:68]
	v_mul_f64_e32 v[61:62], -0.5, v[61:62]
	v_add_f64_e32 v[69:70], v[69:70], v[36:37]
	v_fma_f64 v[4:5], v[85:86], s[2:3], v[24:25]
	v_fma_f64 v[6:7], v[85:86], s[4:5], v[24:25]
	;; [unrolled: 1-line block ×6, first 2 shown]
	v_add_f64_e32 v[38:39], v[87:88], v[42:43]
	v_add_f64_e64 v[2:3], v[16:17], -v[22:23]
	v_add_f64_e64 v[42:43], v[87:88], -v[42:43]
	v_fma_f64 v[73:74], v[71:72], 0.5, v[73:74]
	v_fma_f64 v[75:76], v[59:60], -0.5, v[75:76]
	v_fma_f64 v[71:72], v[71:72], s[4:5], v[77:78]
	v_fma_f64 v[18:19], v[46:47], s[2:3], v[0:1]
	;; [unrolled: 1-line block ×3, first 2 shown]
	v_add_f64_e64 v[0:1], v[12:13], -v[14:15]
	v_fma_f64 v[24:25], v[65:66], 0.5, v[79:80]
	v_fma_f64 v[26:27], v[63:64], -0.5, v[81:82]
	v_fma_f64 v[32:33], v[65:66], s[4:5], v[83:84]
	v_fma_f64 v[34:35], v[63:64], s[4:5], v[67:68]
	;; [unrolled: 1-line block ×3, first 2 shown]
	v_add_f64_e32 v[36:37], v[69:70], v[40:41]
	v_add_f64_e64 v[40:41], v[69:70], -v[40:41]
	v_cmp_lt_u32_e64 s2, 0x59, v50
	v_add_f64_e32 v[44:45], v[4:5], v[73:74]
	v_add_f64_e32 v[59:60], v[6:7], v[75:76]
	;; [unrolled: 1-line block ×3, first 2 shown]
	v_add_f64_e64 v[63:64], v[4:5], -v[73:74]
	v_add_f64_e64 v[67:68], v[6:7], -v[75:76]
	;; [unrolled: 1-line block ×7, first 2 shown]
	v_add_f64_e32 v[61:62], v[85:86], v[77:78]
	v_add_f64_e64 v[69:70], v[85:86], -v[77:78]
	s_wait_alu 0xf1ff
	v_cndmask_b32_e64 v71, 0, 0x21c0, s2
	v_lshlrev_b32_e32 v72, 4, v109
	s_delay_alu instid0(VALU_DEP_1)
	v_add3_u32 v71, 0, v71, v72
	ds_store_b128 v71, v[36:39]
	ds_store_b128 v71, v[44:47] offset:1440
	ds_store_b128 v71, v[59:62] offset:2880
	;; [unrolled: 1-line block ×5, first 2 shown]
	s_and_saveexec_b32 s2, s1
	s_cbranch_execz .LBB0_31
; %bb.30:
	v_add_f64_e32 v[16:17], v[16:17], v[22:23]
	v_add_f64_e32 v[14:15], v[12:13], v[14:15]
	;; [unrolled: 1-line block ×6, first 2 shown]
	v_mul_lo_u16 v12, 0x21c, v54
	v_lshlrev_b32_e32 v13, 4, v55
	s_delay_alu instid0(VALU_DEP_2) | instskip(NEXT) | instid1(VALU_DEP_1)
	v_and_b32_e32 v12, 0xffff, v12
	v_lshlrev_b32_e32 v12, 4, v12
	s_delay_alu instid0(VALU_DEP_1)
	v_add3_u32 v12, 0, v13, v12
	ds_store_b128 v12, v[14:17]
	ds_store_b128 v12, v[32:35] offset:1440
	ds_store_b128 v12, v[28:31] offset:2880
	;; [unrolled: 1-line block ×5, first 2 shown]
.LBB0_31:
	s_wait_alu 0xfffe
	s_or_b32 exec_lo, exec_lo, s2
	global_wb scope:SCOPE_SE
	s_wait_dscnt 0x0
	s_barrier_signal -1
	s_barrier_wait -1
	global_inv scope:SCOPE_SE
	ds_load_b128 v[20:23], v56
	ds_load_b128 v[12:15], v56 offset:2592
	ds_load_b128 v[36:39], v56 offset:17280
	ds_load_b128 v[24:27], v56 offset:19872
	ds_load_b128 v[44:47], v56 offset:8640
	ds_load_b128 v[16:19], v56 offset:5184
	ds_load_b128 v[40:43], v56 offset:11232
	ds_load_b128 v[28:31], v56 offset:13824
	ds_load_b128 v[32:35], v56 offset:22464
	s_and_saveexec_b32 s1, s0
	s_cbranch_execz .LBB0_33
; %bb.32:
	ds_load_b128 v[0:3], v56 offset:7776
	ds_load_b128 v[4:7], v56 offset:16416
	;; [unrolled: 1-line block ×3, first 2 shown]
.LBB0_33:
	s_wait_alu 0xfffe
	s_or_b32 exec_lo, exec_lo, s1
	v_dual_mov_b32 v55, 0 :: v_dual_lshlrev_b32 v54, 1, v50
	s_mov_b32 s2, 0xe8584caa
	s_mov_b32 s3, 0xbfebb67a
	s_wait_alu 0xfffe
	s_mov_b32 s4, s2
	v_lshlrev_b64_e32 v[59:60], 4, v[54:55]
	v_lshlrev_b32_e32 v54, 1, v57
	s_delay_alu instid0(VALU_DEP_1) | instskip(SKIP_1) | instid1(VALU_DEP_4)
	v_lshlrev_b64_e32 v[65:66], 4, v[54:55]
	v_lshlrev_b32_e32 v54, 1, v58
	v_add_co_u32 v61, s1, s8, v59
	s_wait_alu 0xf1ff
	v_add_co_ci_u32_e64 v62, s1, s9, v60, s1
	s_delay_alu instid0(VALU_DEP_3)
	v_lshlrev_b64_e32 v[67:68], 4, v[54:55]
	v_add_co_u32 v69, s1, s8, v65
	s_wait_alu 0xf1ff
	v_add_co_ci_u32_e64 v70, s1, s9, v66, s1
	s_clause 0x1
	global_load_b128 v[57:60], v[61:62], off offset:8496
	global_load_b128 v[61:64], v[61:62], off offset:8480
	v_add_co_u32 v77, s1, s8, v67
	s_wait_alu 0xf1ff
	v_add_co_ci_u32_e64 v78, s1, s9, v68, s1
	s_clause 0x3
	global_load_b128 v[65:68], v[69:70], off offset:8480
	global_load_b128 v[69:72], v[69:70], off offset:8496
	;; [unrolled: 1-line block ×4, first 2 shown]
	global_wb scope:SCOPE_SE
	s_wait_loadcnt_dscnt 0x0
	s_barrier_signal -1
	s_barrier_wait -1
	global_inv scope:SCOPE_SE
	v_mul_f64_e32 v[83:84], v[38:39], v[59:60]
	v_mul_f64_e32 v[81:82], v[46:47], v[63:64]
	;; [unrolled: 1-line block ×12, first 2 shown]
	v_fma_f64 v[36:37], v[36:37], v[57:58], v[83:84]
	v_fma_f64 v[44:45], v[44:45], v[61:62], v[81:82]
	v_fma_f64 v[46:47], v[46:47], v[61:62], -v[63:64]
	v_fma_f64 v[38:39], v[38:39], v[57:58], -v[59:60]
	v_fma_f64 v[40:41], v[40:41], v[65:66], v[85:86]
	v_fma_f64 v[24:25], v[24:25], v[69:70], v[87:88]
	v_fma_f64 v[42:43], v[42:43], v[65:66], -v[67:68]
	v_fma_f64 v[26:27], v[26:27], v[69:70], -v[71:72]
	v_fma_f64 v[28:29], v[28:29], v[73:74], v[89:90]
	v_fma_f64 v[32:33], v[32:33], v[77:78], v[91:92]
	v_fma_f64 v[30:31], v[30:31], v[73:74], -v[75:76]
	v_fma_f64 v[34:35], v[34:35], v[77:78], -v[79:80]
	v_add_f64_e32 v[57:58], v[44:45], v[36:37]
	v_add_f64_e32 v[69:70], v[20:21], v[44:45]
	;; [unrolled: 1-line block ×3, first 2 shown]
	v_add_f64_e64 v[71:72], v[46:47], -v[38:39]
	v_add_f64_e32 v[61:62], v[40:41], v[24:25]
	v_add_f64_e32 v[46:47], v[22:23], v[46:47]
	;; [unrolled: 1-line block ×7, first 2 shown]
	v_add_f64_e64 v[44:45], v[44:45], -v[36:37]
	v_add_f64_e32 v[77:78], v[16:17], v[28:29]
	v_add_f64_e32 v[79:80], v[18:19], v[30:31]
	v_add_f64_e64 v[42:43], v[42:43], -v[26:27]
	v_add_f64_e64 v[40:41], v[40:41], -v[24:25]
	;; [unrolled: 1-line block ×4, first 2 shown]
	v_fma_f64 v[57:58], v[57:58], -0.5, v[20:21]
	v_fma_f64 v[59:60], v[59:60], -0.5, v[22:23]
	;; [unrolled: 1-line block ×3, first 2 shown]
	v_add_f64_e32 v[12:13], v[69:70], v[36:37]
	v_fma_f64 v[63:64], v[63:64], -0.5, v[14:15]
	v_add_f64_e32 v[14:15], v[46:47], v[38:39]
	v_fma_f64 v[65:66], v[65:66], -0.5, v[16:17]
	;; [unrolled: 2-line block ×3, first 2 shown]
	v_add_f64_e32 v[18:19], v[75:76], v[26:27]
	v_add_f64_e32 v[20:21], v[77:78], v[32:33]
	;; [unrolled: 1-line block ×3, first 2 shown]
	v_fma_f64 v[24:25], v[71:72], s[2:3], v[57:58]
	s_wait_alu 0xfffe
	v_fma_f64 v[28:29], v[71:72], s[4:5], v[57:58]
	v_fma_f64 v[26:27], v[44:45], s[4:5], v[59:60]
	;; [unrolled: 1-line block ×11, first 2 shown]
	ds_store_b128 v56, v[12:15]
	ds_store_b128 v56, v[16:19] offset:2592
	ds_store_b128 v56, v[24:27] offset:8640
	;; [unrolled: 1-line block ×8, first 2 shown]
	s_and_saveexec_b32 s1, s0
	s_cbranch_execz .LBB0_35
; %bb.34:
	v_subrev_nc_u32_e32 v12, 54, v50
	s_delay_alu instid0(VALU_DEP_1) | instskip(NEXT) | instid1(VALU_DEP_1)
	v_cndmask_b32_e64 v12, v12, v51, s0
	v_lshlrev_b32_e32 v54, 1, v12
	s_delay_alu instid0(VALU_DEP_1) | instskip(NEXT) | instid1(VALU_DEP_1)
	v_lshlrev_b64_e32 v[12:13], 4, v[54:55]
	v_add_co_u32 v16, s0, s8, v12
	s_wait_alu 0xf1ff
	s_delay_alu instid0(VALU_DEP_2)
	v_add_co_ci_u32_e64 v17, s0, s9, v13, s0
	s_clause 0x1
	global_load_b128 v[12:15], v[16:17], off offset:8480
	global_load_b128 v[16:19], v[16:17], off offset:8496
	s_wait_loadcnt 0x1
	v_mul_f64_e32 v[20:21], v[4:5], v[14:15]
	s_wait_loadcnt 0x0
	v_mul_f64_e32 v[22:23], v[8:9], v[18:19]
	v_mul_f64_e32 v[14:15], v[6:7], v[14:15]
	;; [unrolled: 1-line block ×3, first 2 shown]
	s_delay_alu instid0(VALU_DEP_4) | instskip(NEXT) | instid1(VALU_DEP_4)
	v_fma_f64 v[6:7], v[6:7], v[12:13], -v[20:21]
	v_fma_f64 v[10:11], v[10:11], v[16:17], -v[22:23]
	s_delay_alu instid0(VALU_DEP_4) | instskip(NEXT) | instid1(VALU_DEP_4)
	v_fma_f64 v[4:5], v[4:5], v[12:13], v[14:15]
	v_fma_f64 v[8:9], v[8:9], v[16:17], v[18:19]
	s_delay_alu instid0(VALU_DEP_4) | instskip(NEXT) | instid1(VALU_DEP_4)
	v_add_f64_e32 v[18:19], v[2:3], v[6:7]
	v_add_f64_e32 v[12:13], v[6:7], v[10:11]
	v_add_f64_e64 v[20:21], v[6:7], -v[10:11]
	s_delay_alu instid0(VALU_DEP_4)
	v_add_f64_e32 v[14:15], v[4:5], v[8:9]
	v_add_f64_e64 v[16:17], v[4:5], -v[8:9]
	v_add_f64_e32 v[4:5], v[0:1], v[4:5]
	v_fma_f64 v[12:13], v[12:13], -0.5, v[2:3]
	v_add_f64_e32 v[2:3], v[18:19], v[10:11]
	v_fma_f64 v[14:15], v[14:15], -0.5, v[0:1]
	s_delay_alu instid0(VALU_DEP_4) | instskip(NEXT) | instid1(VALU_DEP_4)
	v_add_f64_e32 v[0:1], v[4:5], v[8:9]
	v_fma_f64 v[10:11], v[16:17], s[4:5], v[12:13]
	v_fma_f64 v[6:7], v[16:17], s[2:3], v[12:13]
	s_delay_alu instid0(VALU_DEP_4)
	v_fma_f64 v[8:9], v[20:21], s[2:3], v[14:15]
	v_fma_f64 v[4:5], v[20:21], s[4:5], v[14:15]
	ds_store_b128 v56, v[0:3] offset:7776
	ds_store_b128 v56, v[8:11] offset:16416
	;; [unrolled: 1-line block ×3, first 2 shown]
.LBB0_35:
	s_wait_alu 0xfffe
	s_or_b32 exec_lo, exec_lo, s1
	global_wb scope:SCOPE_SE
	s_wait_dscnt 0x0
	s_barrier_signal -1
	s_barrier_wait -1
	global_inv scope:SCOPE_SE
	s_and_saveexec_b32 s0, vcc_lo
	s_cbranch_execz .LBB0_37
; %bb.36:
	v_mul_lo_u32 v2, s11, v52
	v_mul_lo_u32 v3, s10, v53
	v_mad_co_u64_u32 v[0:1], null, s10, v52, 0
	v_dual_mov_b32 v51, 0 :: v_dual_add_nc_u32 v10, 0xa2, v50
	v_lshlrev_b64_e32 v[8:9], 4, v[48:49]
	v_lshl_add_u32 v34, v50, 4, 0
	s_delay_alu instid0(VALU_DEP_3) | instskip(SKIP_4) | instid1(VALU_DEP_4)
	v_dual_mov_b32 v11, v51 :: v_dual_add_nc_u32 v12, 0x144, v50
	v_add3_u32 v1, v1, v3, v2
	v_lshlrev_b64_e32 v[14:15], 4, v[50:51]
	v_dual_mov_b32 v13, v51 :: v_dual_add_nc_u32 v22, 0x1e6, v50
	v_dual_mov_b32 v23, v51 :: v_dual_add_nc_u32 v24, 0x288, v50
	v_lshlrev_b64_e32 v[16:17], 4, v[0:1]
	ds_load_b128 v[0:3], v34
	ds_load_b128 v[4:7], v34 offset:2592
	v_mov_b32_e32 v25, v51
	v_lshlrev_b64_e32 v[22:23], 4, v[22:23]
	v_add_co_u32 v18, vcc_lo, s6, v16
	s_wait_alu 0xfffd
	v_add_co_ci_u32_e32 v19, vcc_lo, s7, v17, vcc_lo
	v_lshlrev_b64_e32 v[16:17], 4, v[10:11]
	s_delay_alu instid0(VALU_DEP_3) | instskip(SKIP_1) | instid1(VALU_DEP_3)
	v_add_co_u32 v36, vcc_lo, v18, v8
	s_wait_alu 0xfffd
	v_add_co_ci_u32_e32 v37, vcc_lo, v19, v9, vcc_lo
	v_lshlrev_b64_e32 v[18:19], 4, v[12:13]
	s_delay_alu instid0(VALU_DEP_3) | instskip(SKIP_1) | instid1(VALU_DEP_3)
	v_add_co_u32 v20, vcc_lo, v36, v14
	s_wait_alu 0xfffd
	v_add_co_ci_u32_e32 v21, vcc_lo, v37, v15, vcc_lo
	ds_load_b128 v[8:11], v34 offset:5184
	ds_load_b128 v[12:15], v34 offset:7776
	v_add_co_u32 v16, vcc_lo, v36, v16
	s_wait_alu 0xfffd
	v_add_co_ci_u32_e32 v17, vcc_lo, v37, v17, vcc_lo
	v_add_co_u32 v18, vcc_lo, v36, v18
	s_wait_alu 0xfffd
	v_add_co_ci_u32_e32 v19, vcc_lo, v37, v19, vcc_lo
	v_add_co_u32 v22, vcc_lo, v36, v22
	s_wait_dscnt 0x3
	global_store_b128 v[20:21], v[0:3], off
	s_wait_dscnt 0x2
	global_store_b128 v[16:17], v[4:7], off
	v_dual_mov_b32 v3, v51 :: v_dual_add_nc_u32 v2, 0x32a, v50
	s_wait_alu 0xfffd
	v_add_co_ci_u32_e32 v23, vcc_lo, v37, v23, vcc_lo
	v_lshlrev_b64_e32 v[0:1], 4, v[24:25]
	s_wait_dscnt 0x1
	global_store_b128 v[18:19], v[8:11], off
	s_wait_dscnt 0x0
	global_store_b128 v[22:23], v[12:15], off
	v_add_nc_u32_e32 v10, 0x3cc, v50
	v_lshlrev_b64_e32 v[8:9], 4, v[2:3]
	v_add_co_u32 v24, vcc_lo, v36, v0
	v_dual_mov_b32 v11, v51 :: v_dual_add_nc_u32 v16, 0x46e, v50
	s_wait_alu 0xfffd
	v_add_co_ci_u32_e32 v25, vcc_lo, v37, v1, vcc_lo
	s_delay_alu instid0(VALU_DEP_4)
	v_add_co_u32 v26, vcc_lo, v36, v8
	s_wait_alu 0xfffd
	v_add_co_ci_u32_e32 v27, vcc_lo, v37, v9, vcc_lo
	v_lshlrev_b64_e32 v[8:9], 4, v[10:11]
	v_dual_mov_b32 v17, v51 :: v_dual_add_nc_u32 v18, 0x510, v50
	v_dual_mov_b32 v19, v51 :: v_dual_add_nc_u32 v50, 0x5b2, v50
	ds_load_b128 v[0:3], v34 offset:10368
	ds_load_b128 v[4:7], v34 offset:12960
	v_add_co_u32 v28, vcc_lo, v36, v8
	s_wait_alu 0xfffd
	v_add_co_ci_u32_e32 v29, vcc_lo, v37, v9, vcc_lo
	ds_load_b128 v[8:11], v34 offset:15552
	ds_load_b128 v[12:15], v34 offset:18144
	v_lshlrev_b64_e32 v[30:31], 4, v[16:17]
	v_lshlrev_b64_e32 v[32:33], 4, v[18:19]
	ds_load_b128 v[16:19], v34 offset:20736
	ds_load_b128 v[20:23], v34 offset:23328
	v_lshlrev_b64_e32 v[34:35], 4, v[50:51]
	v_add_co_u32 v30, vcc_lo, v36, v30
	s_wait_alu 0xfffd
	v_add_co_ci_u32_e32 v31, vcc_lo, v37, v31, vcc_lo
	v_add_co_u32 v32, vcc_lo, v36, v32
	s_wait_alu 0xfffd
	v_add_co_ci_u32_e32 v33, vcc_lo, v37, v33, vcc_lo
	;; [unrolled: 3-line block ×3, first 2 shown]
	s_wait_dscnt 0x5
	global_store_b128 v[24:25], v[0:3], off
	s_wait_dscnt 0x4
	global_store_b128 v[26:27], v[4:7], off
	;; [unrolled: 2-line block ×6, first 2 shown]
.LBB0_37:
	s_nop 0
	s_sendmsg sendmsg(MSG_DEALLOC_VGPRS)
	s_endpgm
	.section	.rodata,"a",@progbits
	.p2align	6, 0x0
	.amdhsa_kernel fft_rtc_back_len1620_factors_10_3_3_6_3_wgs_162_tpt_162_halfLds_dp_op_CI_CI_unitstride_sbrr_C2R_dirReg
		.amdhsa_group_segment_fixed_size 0
		.amdhsa_private_segment_fixed_size 0
		.amdhsa_kernarg_size 104
		.amdhsa_user_sgpr_count 2
		.amdhsa_user_sgpr_dispatch_ptr 0
		.amdhsa_user_sgpr_queue_ptr 0
		.amdhsa_user_sgpr_kernarg_segment_ptr 1
		.amdhsa_user_sgpr_dispatch_id 0
		.amdhsa_user_sgpr_private_segment_size 0
		.amdhsa_wavefront_size32 1
		.amdhsa_uses_dynamic_stack 0
		.amdhsa_enable_private_segment 0
		.amdhsa_system_sgpr_workgroup_id_x 1
		.amdhsa_system_sgpr_workgroup_id_y 0
		.amdhsa_system_sgpr_workgroup_id_z 0
		.amdhsa_system_sgpr_workgroup_info 0
		.amdhsa_system_vgpr_workitem_id 0
		.amdhsa_next_free_vgpr 110
		.amdhsa_next_free_sgpr 39
		.amdhsa_reserve_vcc 1
		.amdhsa_float_round_mode_32 0
		.amdhsa_float_round_mode_16_64 0
		.amdhsa_float_denorm_mode_32 3
		.amdhsa_float_denorm_mode_16_64 3
		.amdhsa_fp16_overflow 0
		.amdhsa_workgroup_processor_mode 1
		.amdhsa_memory_ordered 1
		.amdhsa_forward_progress 0
		.amdhsa_round_robin_scheduling 0
		.amdhsa_exception_fp_ieee_invalid_op 0
		.amdhsa_exception_fp_denorm_src 0
		.amdhsa_exception_fp_ieee_div_zero 0
		.amdhsa_exception_fp_ieee_overflow 0
		.amdhsa_exception_fp_ieee_underflow 0
		.amdhsa_exception_fp_ieee_inexact 0
		.amdhsa_exception_int_div_zero 0
	.end_amdhsa_kernel
	.text
.Lfunc_end0:
	.size	fft_rtc_back_len1620_factors_10_3_3_6_3_wgs_162_tpt_162_halfLds_dp_op_CI_CI_unitstride_sbrr_C2R_dirReg, .Lfunc_end0-fft_rtc_back_len1620_factors_10_3_3_6_3_wgs_162_tpt_162_halfLds_dp_op_CI_CI_unitstride_sbrr_C2R_dirReg
                                        ; -- End function
	.section	.AMDGPU.csdata,"",@progbits
; Kernel info:
; codeLenInByte = 10220
; NumSgprs: 41
; NumVgprs: 110
; ScratchSize: 0
; MemoryBound: 0
; FloatMode: 240
; IeeeMode: 1
; LDSByteSize: 0 bytes/workgroup (compile time only)
; SGPRBlocks: 5
; VGPRBlocks: 13
; NumSGPRsForWavesPerEU: 41
; NumVGPRsForWavesPerEU: 110
; Occupancy: 12
; WaveLimiterHint : 1
; COMPUTE_PGM_RSRC2:SCRATCH_EN: 0
; COMPUTE_PGM_RSRC2:USER_SGPR: 2
; COMPUTE_PGM_RSRC2:TRAP_HANDLER: 0
; COMPUTE_PGM_RSRC2:TGID_X_EN: 1
; COMPUTE_PGM_RSRC2:TGID_Y_EN: 0
; COMPUTE_PGM_RSRC2:TGID_Z_EN: 0
; COMPUTE_PGM_RSRC2:TIDIG_COMP_CNT: 0
	.text
	.p2alignl 7, 3214868480
	.fill 96, 4, 3214868480
	.type	__hip_cuid_1c7debda3bcfec71,@object ; @__hip_cuid_1c7debda3bcfec71
	.section	.bss,"aw",@nobits
	.globl	__hip_cuid_1c7debda3bcfec71
__hip_cuid_1c7debda3bcfec71:
	.byte	0                               ; 0x0
	.size	__hip_cuid_1c7debda3bcfec71, 1

	.ident	"AMD clang version 19.0.0git (https://github.com/RadeonOpenCompute/llvm-project roc-6.4.0 25133 c7fe45cf4b819c5991fe208aaa96edf142730f1d)"
	.section	".note.GNU-stack","",@progbits
	.addrsig
	.addrsig_sym __hip_cuid_1c7debda3bcfec71
	.amdgpu_metadata
---
amdhsa.kernels:
  - .args:
      - .actual_access:  read_only
        .address_space:  global
        .offset:         0
        .size:           8
        .value_kind:     global_buffer
      - .offset:         8
        .size:           8
        .value_kind:     by_value
      - .actual_access:  read_only
        .address_space:  global
        .offset:         16
        .size:           8
        .value_kind:     global_buffer
      - .actual_access:  read_only
        .address_space:  global
        .offset:         24
        .size:           8
        .value_kind:     global_buffer
      - .actual_access:  read_only
        .address_space:  global
        .offset:         32
        .size:           8
        .value_kind:     global_buffer
      - .offset:         40
        .size:           8
        .value_kind:     by_value
      - .actual_access:  read_only
        .address_space:  global
        .offset:         48
        .size:           8
        .value_kind:     global_buffer
      - .actual_access:  read_only
        .address_space:  global
        .offset:         56
        .size:           8
        .value_kind:     global_buffer
      - .offset:         64
        .size:           4
        .value_kind:     by_value
      - .actual_access:  read_only
        .address_space:  global
        .offset:         72
        .size:           8
        .value_kind:     global_buffer
      - .actual_access:  read_only
        .address_space:  global
        .offset:         80
        .size:           8
        .value_kind:     global_buffer
      - .actual_access:  read_only
        .address_space:  global
        .offset:         88
        .size:           8
        .value_kind:     global_buffer
      - .actual_access:  write_only
        .address_space:  global
        .offset:         96
        .size:           8
        .value_kind:     global_buffer
    .group_segment_fixed_size: 0
    .kernarg_segment_align: 8
    .kernarg_segment_size: 104
    .language:       OpenCL C
    .language_version:
      - 2
      - 0
    .max_flat_workgroup_size: 162
    .name:           fft_rtc_back_len1620_factors_10_3_3_6_3_wgs_162_tpt_162_halfLds_dp_op_CI_CI_unitstride_sbrr_C2R_dirReg
    .private_segment_fixed_size: 0
    .sgpr_count:     41
    .sgpr_spill_count: 0
    .symbol:         fft_rtc_back_len1620_factors_10_3_3_6_3_wgs_162_tpt_162_halfLds_dp_op_CI_CI_unitstride_sbrr_C2R_dirReg.kd
    .uniform_work_group_size: 1
    .uses_dynamic_stack: false
    .vgpr_count:     110
    .vgpr_spill_count: 0
    .wavefront_size: 32
    .workgroup_processor_mode: 1
amdhsa.target:   amdgcn-amd-amdhsa--gfx1201
amdhsa.version:
  - 1
  - 2
...

	.end_amdgpu_metadata
